;; amdgpu-corpus repo=ROCm/rocFFT kind=compiled arch=gfx906 opt=O3
	.text
	.amdgcn_target "amdgcn-amd-amdhsa--gfx906"
	.amdhsa_code_object_version 6
	.protected	bluestein_single_fwd_len1001_dim1_dp_op_CI_CI ; -- Begin function bluestein_single_fwd_len1001_dim1_dp_op_CI_CI
	.globl	bluestein_single_fwd_len1001_dim1_dp_op_CI_CI
	.p2align	8
	.type	bluestein_single_fwd_len1001_dim1_dp_op_CI_CI,@function
bluestein_single_fwd_len1001_dim1_dp_op_CI_CI: ; @bluestein_single_fwd_len1001_dim1_dp_op_CI_CI
; %bb.0:
	s_mov_b64 s[54:55], s[2:3]
	v_mul_u32_u24_e32 v1, 0x2d1, v0
	s_mov_b64 s[52:53], s[0:1]
	v_lshrrev_b32_e32 v1, 16, v1
	s_add_u32 s52, s52, s7
	v_lshl_add_u32 v3, s6, 1, v1
	s_addc_u32 s53, s53, 0
	v_mov_b32_e32 v2, v3
	buffer_store_dword v2, off, s[52:55], 0 ; 4-byte Folded Spill
	s_nop 0
	buffer_store_dword v3, off, s[52:55], 0 offset:4 ; 4-byte Folded Spill
	s_load_dwordx4 s[0:3], s[4:5], 0x28
	v_mov_b32_e32 v4, 0
	s_waitcnt lgkmcnt(0)
	v_cmp_gt_u64_e32 vcc, s[0:1], v[3:4]
	s_and_saveexec_b64 s[0:1], vcc
	s_cbranch_execz .LBB0_23
; %bb.1:
	s_load_dwordx2 s[14:15], s[4:5], 0x0
	s_load_dwordx2 s[12:13], s[4:5], 0x38
	v_mul_lo_u16_e32 v2, 0x5b, v1
	v_sub_u16_e32 v255, v0, v2
	v_and_b32_e32 v0, 1, v1
	v_mov_b32_e32 v1, 0x3e9
	v_cmp_eq_u32_e32 vcc, 1, v0
	v_cndmask_b32_e32 v245, 0, v1, vcc
	s_movk_i32 s0, 0x4d
	v_cmp_gt_u16_e64 s[0:1], s0, v255
	v_lshlrev_b32_e32 v0, 4, v245
	buffer_store_dword v0, off, s[52:55], 0 offset:8 ; 4-byte Folded Spill
	s_and_saveexec_b64 s[6:7], s[0:1]
	s_cbranch_execz .LBB0_3
; %bb.2:
	s_load_dwordx2 s[8:9], s[4:5], 0x18
	v_lshlrev_b32_e32 v108, 4, v255
	s_waitcnt lgkmcnt(0)
	s_load_dwordx4 s[8:11], s[8:9], 0x0
	buffer_load_dword v0, off, s[52:55], 0  ; 4-byte Folded Reload
	buffer_load_dword v1, off, s[52:55], 0 offset:4 ; 4-byte Folded Reload
	s_waitcnt lgkmcnt(0)
	v_mad_u64_u32 v[2:3], s[16:17], s8, v255, 0
	s_waitcnt vmcnt(1)
	v_mov_b32_e32 v4, v0
	s_waitcnt vmcnt(0)
	v_mad_u64_u32 v[0:1], s[16:17], s10, v4, 0
	v_mad_u64_u32 v[4:5], s[10:11], s11, v4, v[1:2]
	;; [unrolled: 1-line block ×3, first 2 shown]
	v_mov_b32_e32 v1, v4
	v_lshlrev_b64 v[0:1], 4, v[0:1]
	v_mov_b32_e32 v3, v5
	v_mov_b32_e32 v6, s3
	v_lshlrev_b64 v[2:3], 4, v[2:3]
	v_add_co_u32_e32 v0, vcc, s2, v0
	v_addc_co_u32_e32 v1, vcc, v6, v1, vcc
	v_add_co_u32_e32 v16, vcc, v0, v2
	v_addc_co_u32_e32 v17, vcc, v1, v3, vcc
	v_mov_b32_e32 v0, s15
	v_add_co_u32_e32 v86, vcc, s14, v108
	s_mul_i32 s2, s9, 0x4d0
	s_mul_hi_u32 s3, s8, 0x4d0
	v_addc_co_u32_e32 v87, vcc, 0, v0, vcc
	s_add_i32 s2, s3, s2
	s_mul_i32 s3, s8, 0x4d0
	v_mov_b32_e32 v0, s2
	v_add_co_u32_e32 v18, vcc, s3, v16
	v_addc_co_u32_e32 v19, vcc, v17, v0, vcc
	global_load_dwordx4 v[0:3], v[16:17], off
	global_load_dwordx4 v[4:7], v[18:19], off
	global_load_dwordx4 v[8:11], v108, s[14:15]
	global_load_dwordx4 v[12:15], v108, s[14:15] offset:1232
	v_mov_b32_e32 v16, s2
	v_add_co_u32_e32 v32, vcc, s3, v18
	v_addc_co_u32_e32 v33, vcc, v19, v16, vcc
	v_add_co_u32_e32 v34, vcc, s3, v32
	v_addc_co_u32_e32 v35, vcc, v33, v16, vcc
	global_load_dwordx4 v[16:19], v[32:33], off
	global_load_dwordx4 v[20:23], v[34:35], off
	global_load_dwordx4 v[24:27], v108, s[14:15] offset:2464
	global_load_dwordx4 v[28:31], v108, s[14:15] offset:3696
	v_mov_b32_e32 v32, s2
	v_add_co_u32_e32 v36, vcc, s3, v34
	v_addc_co_u32_e32 v37, vcc, v35, v32, vcc
	s_movk_i32 s8, 0x1000
	v_add_co_u32_e32 v56, vcc, s8, v86
	v_addc_co_u32_e32 v57, vcc, 0, v87, vcc
	v_mov_b32_e32 v38, s2
	v_add_co_u32_e32 v48, vcc, s3, v36
	global_load_dwordx4 v[32:35], v[36:37], off
	v_addc_co_u32_e32 v49, vcc, v37, v38, vcc
	global_load_dwordx4 v[36:39], v[48:49], off
	global_load_dwordx4 v[40:43], v[56:57], off offset:832
	global_load_dwordx4 v[44:47], v[56:57], off offset:2064
	v_mov_b32_e32 v50, s2
	v_add_co_u32_e32 v58, vcc, s3, v48
	v_addc_co_u32_e32 v59, vcc, v49, v50, vcc
	global_load_dwordx4 v[48:51], v[58:59], off
	global_load_dwordx4 v[52:55], v[56:57], off offset:3296
	v_mov_b32_e32 v56, s2
	v_add_co_u32_e32 v60, vcc, s3, v58
	v_addc_co_u32_e32 v61, vcc, v59, v56, vcc
	s_movk_i32 s8, 0x2000
	v_add_co_u32_e32 v80, vcc, s8, v86
	v_addc_co_u32_e32 v81, vcc, 0, v87, vcc
	v_mov_b32_e32 v62, s2
	v_add_co_u32_e32 v72, vcc, s3, v60
	v_addc_co_u32_e32 v73, vcc, v61, v62, vcc
	v_mov_b32_e32 v74, s2
	v_add_co_u32_e32 v82, vcc, s3, v72
	v_addc_co_u32_e32 v83, vcc, v73, v74, vcc
	global_load_dwordx4 v[56:59], v[60:61], off
	s_nop 0
	global_load_dwordx4 v[60:63], v[72:73], off
	global_load_dwordx4 v[64:67], v[80:81], off offset:432
	global_load_dwordx4 v[68:71], v[80:81], off offset:1664
	s_nop 0
	global_load_dwordx4 v[72:75], v[82:83], off
	global_load_dwordx4 v[76:79], v[80:81], off offset:2896
	v_mov_b32_e32 v80, s2
	v_add_co_u32_e32 v84, vcc, s3, v82
	v_addc_co_u32_e32 v85, vcc, v83, v80, vcc
	s_movk_i32 s8, 0x3000
	v_add_co_u32_e32 v104, vcc, s8, v86
	v_addc_co_u32_e32 v105, vcc, 0, v87, vcc
	v_mov_b32_e32 v86, s2
	v_add_co_u32_e32 v96, vcc, s3, v84
	v_addc_co_u32_e32 v97, vcc, v85, v86, vcc
	global_load_dwordx4 v[80:83], v[84:85], off
	v_mov_b32_e32 v98, s2
	v_add_co_u32_e32 v106, vcc, s3, v96
	global_load_dwordx4 v[84:87], v[96:97], off
	global_load_dwordx4 v[88:91], v[104:105], off offset:32
	global_load_dwordx4 v[92:95], v[104:105], off offset:1264
	v_addc_co_u32_e32 v107, vcc, v97, v98, vcc
	global_load_dwordx4 v[96:99], v[106:107], off
	global_load_dwordx4 v[100:103], v[104:105], off offset:2496
	s_waitcnt vmcnt(23)
	v_mul_f64 v[104:105], v[2:3], v[10:11]
	v_mul_f64 v[10:11], v[0:1], v[10:11]
	v_fma_f64 v[0:1], v[0:1], v[8:9], v[104:105]
	v_fma_f64 v[2:3], v[2:3], v[8:9], -v[10:11]
	s_waitcnt vmcnt(22)
	v_mul_f64 v[8:9], v[6:7], v[14:15]
	v_mul_f64 v[10:11], v[4:5], v[14:15]
	s_waitcnt vmcnt(19)
	v_mul_f64 v[14:15], v[18:19], v[26:27]
	v_mul_f64 v[26:27], v[16:17], v[26:27]
	;; [unrolled: 3-line block ×3, first 2 shown]
	v_fma_f64 v[4:5], v[4:5], v[12:13], v[8:9]
	v_fma_f64 v[6:7], v[6:7], v[12:13], -v[10:11]
	v_fma_f64 v[8:9], v[16:17], v[24:25], v[14:15]
	v_fma_f64 v[10:11], v[18:19], v[24:25], -v[26:27]
	;; [unrolled: 2-line block ×3, first 2 shown]
	v_lshlrev_b32_e32 v21, 4, v245
	v_lshl_add_u32 v20, v255, 4, v21
	s_waitcnt vmcnt(15)
	v_mul_f64 v[106:107], v[34:35], v[42:43]
	v_mul_f64 v[42:43], v[32:33], v[42:43]
	ds_write_b128 v20, v[0:3]
	s_waitcnt vmcnt(14)
	v_mul_f64 v[0:1], v[38:39], v[46:47]
	v_mul_f64 v[2:3], v[36:37], v[46:47]
	v_fma_f64 v[16:17], v[32:33], v[40:41], v[106:107]
	v_fma_f64 v[18:19], v[34:35], v[40:41], -v[42:43]
	v_add_u32_e32 v32, v21, v108
	ds_write_b128 v32, v[4:7] offset:1232
	ds_write_b128 v32, v[8:11] offset:2464
	ds_write_b128 v32, v[12:15] offset:3696
	ds_write_b128 v32, v[16:19] offset:4928
	s_waitcnt vmcnt(12)
	v_mul_f64 v[4:5], v[50:51], v[54:55]
	v_mul_f64 v[6:7], v[48:49], v[54:55]
	v_fma_f64 v[0:1], v[36:37], v[44:45], v[0:1]
	v_fma_f64 v[2:3], v[38:39], v[44:45], -v[2:3]
	v_fma_f64 v[4:5], v[48:49], v[52:53], v[4:5]
	v_fma_f64 v[6:7], v[50:51], v[52:53], -v[6:7]
	s_waitcnt vmcnt(9)
	v_mul_f64 v[8:9], v[58:59], v[66:67]
	v_mul_f64 v[10:11], v[56:57], v[66:67]
	s_waitcnt vmcnt(8)
	v_mul_f64 v[12:13], v[62:63], v[70:71]
	v_mul_f64 v[14:15], v[60:61], v[70:71]
	;; [unrolled: 3-line block ×3, first 2 shown]
	v_fma_f64 v[8:9], v[56:57], v[64:65], v[8:9]
	v_fma_f64 v[10:11], v[58:59], v[64:65], -v[10:11]
	v_fma_f64 v[12:13], v[60:61], v[68:69], v[12:13]
	v_fma_f64 v[14:15], v[62:63], v[68:69], -v[14:15]
	;; [unrolled: 2-line block ×3, first 2 shown]
	s_waitcnt vmcnt(3)
	v_mul_f64 v[20:21], v[82:83], v[90:91]
	v_mul_f64 v[22:23], v[80:81], v[90:91]
	s_waitcnt vmcnt(2)
	v_mul_f64 v[24:25], v[86:87], v[94:95]
	v_mul_f64 v[26:27], v[84:85], v[94:95]
	;; [unrolled: 3-line block ×3, first 2 shown]
	v_fma_f64 v[20:21], v[80:81], v[88:89], v[20:21]
	v_fma_f64 v[22:23], v[82:83], v[88:89], -v[22:23]
	v_fma_f64 v[24:25], v[84:85], v[92:93], v[24:25]
	v_fma_f64 v[26:27], v[86:87], v[92:93], -v[26:27]
	;; [unrolled: 2-line block ×3, first 2 shown]
	ds_write_b128 v32, v[0:3] offset:6160
	ds_write_b128 v32, v[4:7] offset:7392
	;; [unrolled: 1-line block ×8, first 2 shown]
.LBB0_3:
	s_or_b64 exec, exec, s[6:7]
	s_waitcnt vmcnt(0) lgkmcnt(0)
	s_barrier
	s_waitcnt lgkmcnt(0)
                                        ; implicit-def: $vgpr0_vgpr1
                                        ; implicit-def: $vgpr4_vgpr5
                                        ; implicit-def: $vgpr8_vgpr9
                                        ; implicit-def: $vgpr12_vgpr13
                                        ; implicit-def: $vgpr16_vgpr17
                                        ; implicit-def: $vgpr20_vgpr21
                                        ; implicit-def: $vgpr24_vgpr25
                                        ; implicit-def: $vgpr28_vgpr29
                                        ; implicit-def: $vgpr32_vgpr33
                                        ; implicit-def: $vgpr36_vgpr37
                                        ; implicit-def: $vgpr40_vgpr41
                                        ; implicit-def: $vgpr44_vgpr45
                                        ; implicit-def: $vgpr56_vgpr57
	s_and_saveexec_b64 s[2:3], s[0:1]
	s_cbranch_execz .LBB0_5
; %bb.4:
	v_lshlrev_b32_e32 v0, 4, v255
	v_lshl_add_u32 v48, v245, 4, v0
	ds_read_b128 v[0:3], v48
	ds_read_b128 v[4:7], v48 offset:1232
	ds_read_b128 v[8:11], v48 offset:2464
	ds_read_b128 v[12:15], v48 offset:3696
	ds_read_b128 v[16:19], v48 offset:4928
	ds_read_b128 v[20:23], v48 offset:6160
	ds_read_b128 v[24:27], v48 offset:7392
	ds_read_b128 v[28:31], v48 offset:8624
	ds_read_b128 v[32:35], v48 offset:9856
	ds_read_b128 v[36:39], v48 offset:11088
	ds_read_b128 v[40:43], v48 offset:12320
	ds_read_b128 v[44:47], v48 offset:13552
	ds_read_b128 v[56:59], v48 offset:14784
.LBB0_5:
	s_or_b64 exec, exec, s[2:3]
	s_waitcnt lgkmcnt(0)
	v_add_f64 v[54:55], v[6:7], -v[58:59]
	s_mov_b32 s9, 0xbfddbe06
	s_mov_b32 s8, 0x4267c47c
	v_add_f64 v[52:53], v[4:5], -v[56:57]
	v_add_f64 v[98:99], v[4:5], v[56:57]
	v_add_f64 v[74:75], v[10:11], -v[46:47]
	s_mov_b32 s2, 0xe00740e9
	s_mov_b32 s10, 0x42a4c3d2
	v_mul_f64 v[76:77], v[54:55], s[8:9]
	s_mov_b32 s3, 0x3fec55a7
	s_mov_b32 s11, 0xbfea55e2
	v_add_f64 v[94:95], v[6:7], v[58:59]
	v_mul_f64 v[78:79], v[52:53], s[8:9]
	v_add_f64 v[72:73], v[8:9], -v[44:45]
	v_add_f64 v[104:105], v[8:9], v[44:45]
	v_mul_f64 v[80:81], v[74:75], s[10:11]
	v_fma_f64 v[48:49], v[98:99], s[2:3], v[76:77]
	v_add_f64 v[221:222], v[14:15], -v[42:43]
	s_mov_b32 s6, 0x1ea71119
	s_mov_b32 s26, 0x66966769
	;; [unrolled: 1-line block ×4, first 2 shown]
	v_fma_f64 v[50:51], v[94:95], s[2:3], -v[78:79]
	v_add_f64 v[108:109], v[10:11], v[46:47]
	v_add_f64 v[48:49], v[0:1], v[48:49]
	v_mul_f64 v[82:83], v[72:73], s[10:11]
	v_add_f64 v[223:224], v[12:13], -v[40:41]
	v_fma_f64 v[60:61], v[104:105], s[6:7], v[80:81]
	v_add_f64 v[116:117], v[12:13], v[40:41]
	v_mul_f64 v[84:85], v[221:222], s[26:27]
	v_add_f64 v[237:238], v[18:19], -v[38:39]
	s_mov_b32 s16, 0xebaa3ed8
	s_mov_b32 s24, 0x2ef20147
	;; [unrolled: 1-line block ×4, first 2 shown]
	v_add_f64 v[50:51], v[2:3], v[50:51]
	v_fma_f64 v[62:63], v[108:109], s[6:7], -v[82:83]
	v_add_f64 v[118:119], v[14:15], v[42:43]
	v_mul_f64 v[86:87], v[223:224], s[26:27]
	v_add_f64 v[239:240], v[16:17], -v[36:37]
	v_add_f64 v[48:49], v[60:61], v[48:49]
	v_fma_f64 v[60:61], v[116:117], s[16:17], v[84:85]
	v_add_f64 v[124:125], v[16:17], v[36:37]
	v_mul_f64 v[88:89], v[237:238], s[24:25]
	v_add_f64 v[241:242], v[22:23], -v[34:35]
	s_mov_b32 s18, 0xb2365da1
	s_mov_b32 s28, 0x24c2f84
	;; [unrolled: 1-line block ×4, first 2 shown]
	v_add_f64 v[50:51], v[62:63], v[50:51]
	v_fma_f64 v[62:63], v[118:119], s[16:17], -v[86:87]
	v_add_f64 v[138:139], v[18:19], v[38:39]
	v_mul_f64 v[92:93], v[239:240], s[24:25]
	v_add_f64 v[48:49], v[60:61], v[48:49]
	v_fma_f64 v[60:61], v[124:125], s[18:19], v[88:89]
	v_add_f64 v[132:133], v[20:21], v[32:33]
	v_mul_f64 v[90:91], v[241:242], s[28:29]
	v_add_f64 v[243:244], v[20:21], -v[32:33]
	v_mul_f64 v[144:145], v[52:53], s[10:11]
	s_mov_b32 s20, 0xd0032e0c
	s_mov_b32 s21, 0xbfe7f3cc
	v_add_f64 v[50:51], v[62:63], v[50:51]
	v_fma_f64 v[62:63], v[138:139], s[18:19], -v[92:93]
	v_add_f64 v[48:49], v[60:61], v[48:49]
	v_fma_f64 v[60:61], v[132:133], s[20:21], v[90:91]
	v_add_f64 v[134:135], v[22:23], v[34:35]
	v_mul_f64 v[96:97], v[243:244], s[28:29]
	v_mul_f64 v[106:107], v[54:55], s[10:11]
	v_add_f64 v[246:247], v[26:27], -v[30:31]
	v_fma_f64 v[64:65], v[94:95], s[6:7], -v[144:145]
	v_mul_f64 v[120:121], v[72:73], s[24:25]
	v_add_f64 v[248:249], v[24:25], -v[28:29]
	s_mov_b32 s30, 0x4bc48dbf
	s_mov_b32 s31, 0xbfcea1e5
	v_add_f64 v[50:51], v[62:63], v[50:51]
	v_add_f64 v[48:49], v[60:61], v[48:49]
	v_fma_f64 v[60:61], v[134:135], s[20:21], -v[96:97]
	v_fma_f64 v[62:63], v[98:99], s[6:7], v[106:107]
	v_mul_f64 v[110:111], v[74:75], s[24:25]
	v_add_f64 v[158:159], v[24:25], v[28:29]
	v_mul_f64 v[100:101], v[246:247], s[30:31]
	v_add_f64 v[64:65], v[2:3], v[64:65]
	v_fma_f64 v[68:69], v[108:109], s[18:19], -v[120:121]
	v_mul_f64 v[126:127], v[223:224], s[30:31]
	v_add_f64 v[162:163], v[26:27], v[30:31]
	v_mul_f64 v[102:103], v[248:249], s[30:31]
	s_mov_b32 s22, 0x93053d00
	s_mov_b32 s23, 0xbfef11f4
	;; [unrolled: 1-line block ×4, first 2 shown]
	v_add_f64 v[62:63], v[0:1], v[62:63]
	v_fma_f64 v[66:67], v[104:105], s[18:19], v[110:111]
	v_mul_f64 v[112:113], v[221:222], s[30:31]
	v_fma_f64 v[70:71], v[158:159], s[22:23], v[100:101]
	v_add_f64 v[64:65], v[68:69], v[64:65]
	v_fma_f64 v[68:69], v[118:119], s[22:23], -v[126:127]
	v_add_f64 v[50:51], v[60:61], v[50:51]
	v_mul_f64 v[128:129], v[239:240], s[36:37]
	v_fma_f64 v[60:61], v[162:163], s[22:23], -v[102:103]
	v_mul_f64 v[140:141], v[54:55], s[26:27]
	v_mul_f64 v[170:171], v[52:53], s[26:27]
	v_add_f64 v[62:63], v[66:67], v[62:63]
	v_fma_f64 v[66:67], v[116:117], s[22:23], v[112:113]
	v_mul_f64 v[114:115], v[237:238], s[36:37]
	v_add_f64 v[48:49], v[70:71], v[48:49]
	v_add_f64 v[64:65], v[68:69], v[64:65]
	v_fma_f64 v[68:69], v[138:139], s[20:21], -v[128:129]
	v_add_f64 v[50:51], v[60:61], v[50:51]
	v_fma_f64 v[60:61], v[98:99], s[16:17], v[140:141]
	v_mul_f64 v[146:147], v[74:75], s[30:31]
	v_fma_f64 v[70:71], v[94:95], s[16:17], -v[170:171]
	v_mul_f64 v[168:169], v[72:73], s[30:31]
	s_mov_b32 s35, 0x3fefc445
	s_mov_b32 s34, s26
	;; [unrolled: 1-line block ×4, first 2 shown]
	v_add_f64 v[62:63], v[66:67], v[62:63]
	v_fma_f64 v[66:67], v[124:125], s[20:21], v[114:115]
	v_mul_f64 v[122:123], v[241:242], s[34:35]
	v_add_f64 v[64:65], v[68:69], v[64:65]
	v_mul_f64 v[136:137], v[243:244], s[34:35]
	v_add_f64 v[60:61], v[0:1], v[60:61]
	v_fma_f64 v[68:69], v[104:105], s[22:23], v[146:147]
	v_add_f64 v[70:71], v[2:3], v[70:71]
	v_fma_f64 v[150:151], v[108:109], s[22:23], -v[168:169]
	v_mul_f64 v[148:149], v[221:222], s[38:39]
	v_mul_f64 v[152:153], v[223:224], s[38:39]
	s_mov_b32 s9, 0x3fddbe06
	v_add_f64 v[62:63], v[66:67], v[62:63]
	v_fma_f64 v[66:67], v[132:133], s[16:17], v[122:123]
	v_fma_f64 v[156:157], v[134:135], s[16:17], -v[136:137]
	v_mul_f64 v[130:131], v[246:247], s[8:9]
	v_mul_f64 v[142:143], v[248:249], s[8:9]
	v_add_f64 v[60:61], v[68:69], v[60:61]
	v_add_f64 v[68:69], v[150:151], v[70:71]
	v_fma_f64 v[70:71], v[116:117], s[18:19], v[148:149]
	v_fma_f64 v[160:161], v[118:119], s[18:19], -v[152:153]
	v_mul_f64 v[150:151], v[237:238], s[8:9]
	v_mul_f64 v[154:155], v[239:240], s[8:9]
	v_add_f64 v[62:63], v[66:67], v[62:63]
	v_fma_f64 v[66:67], v[158:159], s[2:3], v[130:131]
	v_add_f64 v[64:65], v[156:157], v[64:65]
	v_fma_f64 v[156:157], v[162:163], s[2:3], -v[142:143]
	v_add_f64 v[70:71], v[70:71], v[60:61]
	v_add_f64 v[68:69], v[160:161], v[68:69]
	v_fma_f64 v[160:161], v[124:125], s[2:3], v[150:151]
	v_fma_f64 v[166:167], v[138:139], s[2:3], -v[154:155]
	v_mul_f64 v[172:173], v[54:55], s[24:25]
	v_mul_f64 v[185:186], v[52:53], s[24:25]
	v_add_f64 v[60:61], v[66:67], v[62:63]
	v_add_f64 v[62:63], v[156:157], v[64:65]
	v_mul_f64 v[156:157], v[241:242], s[10:11]
	v_mul_f64 v[164:165], v[243:244], s[10:11]
	v_add_f64 v[64:65], v[160:161], v[70:71]
	v_add_f64 v[66:67], v[166:167], v[68:69]
	v_fma_f64 v[68:69], v[98:99], s[18:19], v[172:173]
	v_mul_f64 v[174:175], v[74:75], s[36:37]
	v_fma_f64 v[70:71], v[94:95], s[18:19], -v[185:186]
	v_mul_f64 v[187:188], v[72:73], s[36:37]
	v_mul_f64 v[201:202], v[54:55], s[28:29]
	;; [unrolled: 1-line block ×3, first 2 shown]
	v_fma_f64 v[176:177], v[132:133], s[6:7], v[156:157]
	v_fma_f64 v[180:181], v[134:135], s[6:7], -v[164:165]
	v_mul_f64 v[160:161], v[246:247], s[28:29]
	v_mul_f64 v[166:167], v[248:249], s[28:29]
	v_add_f64 v[68:69], v[0:1], v[68:69]
	v_fma_f64 v[182:183], v[104:105], s[20:21], v[174:175]
	v_add_f64 v[70:71], v[2:3], v[70:71]
	v_fma_f64 v[191:192], v[108:109], s[20:21], -v[187:188]
	v_mul_f64 v[178:179], v[221:222], s[8:9]
	v_mul_f64 v[189:190], v[223:224], s[8:9]
	v_fma_f64 v[197:198], v[98:99], s[20:21], v[201:202]
	v_mul_f64 v[203:204], v[74:75], s[34:35]
	v_fma_f64 v[199:200], v[94:95], s[20:21], -v[219:220]
	v_mul_f64 v[217:218], v[72:73], s[34:35]
	v_add_f64 v[64:65], v[176:177], v[64:65]
	v_add_f64 v[66:67], v[180:181], v[66:67]
	v_fma_f64 v[180:181], v[158:159], s[20:21], v[160:161]
	v_fma_f64 v[193:194], v[162:163], s[20:21], -v[166:167]
	v_add_f64 v[68:69], v[182:183], v[68:69]
	v_add_f64 v[70:71], v[191:192], v[70:71]
	v_fma_f64 v[182:183], v[116:117], s[2:3], v[178:179]
	v_fma_f64 v[195:196], v[118:119], s[2:3], -v[189:190]
	v_mul_f64 v[176:177], v[237:238], s[26:27]
	v_mul_f64 v[191:192], v[239:240], s[26:27]
	v_add_f64 v[197:198], v[0:1], v[197:198]
	v_fma_f64 v[207:208], v[104:105], s[16:17], v[203:204]
	v_add_f64 v[199:200], v[2:3], v[199:200]
	v_fma_f64 v[209:210], v[108:109], s[16:17], -v[217:218]
	v_mul_f64 v[205:206], v[221:222], s[10:11]
	v_mul_f64 v[215:216], v[223:224], s[10:11]
	s_mov_b32 s27, 0x3fcea1e5
	s_mov_b32 s26, s30
	v_add_f64 v[64:65], v[180:181], v[64:65]
	v_add_f64 v[66:67], v[193:194], v[66:67]
	;; [unrolled: 1-line block ×4, first 2 shown]
	v_fma_f64 v[182:183], v[124:125], s[16:17], v[176:177]
	v_fma_f64 v[195:196], v[138:139], s[16:17], -v[191:192]
	v_mul_f64 v[180:181], v[241:242], s[26:27]
	v_mul_f64 v[193:194], v[243:244], s[26:27]
	v_add_f64 v[207:208], v[207:208], v[197:198]
	v_add_f64 v[199:200], v[209:210], v[199:200]
	v_fma_f64 v[209:210], v[116:117], s[6:7], v[205:206]
	v_fma_f64 v[227:228], v[118:119], s[6:7], -v[215:216]
	v_mul_f64 v[197:198], v[237:238], s[26:27]
	v_mul_f64 v[213:214], v[239:240], s[26:27]
	s_mov_b32 s11, 0x3fea55e2
	v_add_f64 v[68:69], v[182:183], v[68:69]
	v_add_f64 v[70:71], v[195:196], v[70:71]
	v_fma_f64 v[211:212], v[132:133], s[22:23], v[180:181]
	v_fma_f64 v[225:226], v[134:135], s[22:23], -v[193:194]
	v_mul_f64 v[182:183], v[246:247], s[10:11]
	v_mul_f64 v[195:196], v[248:249], s[10:11]
	v_add_f64 v[207:208], v[209:210], v[207:208]
	v_add_f64 v[227:228], v[227:228], v[199:200]
	v_fma_f64 v[229:230], v[124:125], s[22:23], v[197:198]
	v_fma_f64 v[231:232], v[138:139], s[22:23], -v[213:214]
	v_mul_f64 v[199:200], v[241:242], s[8:9]
	v_mul_f64 v[209:210], v[243:244], s[8:9]
	v_add_f64 v[68:69], v[211:212], v[68:69]
	v_add_f64 v[70:71], v[225:226], v[70:71]
	v_fma_f64 v[225:226], v[158:159], s[6:7], v[182:183]
	v_fma_f64 v[235:236], v[162:163], s[6:7], -v[195:196]
	v_add_f64 v[250:251], v[229:230], v[207:208]
	v_add_f64 v[227:228], v[231:232], v[227:228]
	v_fma_f64 v[231:232], v[132:133], s[2:3], v[199:200]
	v_fma_f64 v[252:253], v[134:135], s[2:3], -v[209:210]
	v_mul_f64 v[207:208], v[246:247], s[24:25]
	v_mul_f64 v[211:212], v[248:249], s[24:25]
	;; [unrolled: 1-line block ×4, first 2 shown]
	v_add_f64 v[68:69], v[225:226], v[68:69]
	v_add_f64 v[70:71], v[235:236], v[70:71]
	;; [unrolled: 1-line block ×4, first 2 shown]
	v_fma_f64 v[227:228], v[158:159], s[18:19], v[207:208]
	v_fma_f64 v[231:232], v[162:163], s[18:19], -v[211:212]
	v_fma_f64 v[250:251], v[98:99], s[22:23], v[229:230]
	v_mul_f64 v[225:226], v[74:75], s[8:9]
	v_fma_f64 v[252:253], v[94:95], s[22:23], -v[233:234]
	v_mul_f64 v[235:236], v[72:73], s[8:9]
	v_mul_f64 v[239:240], v[239:240], s[10:11]
	v_add_f64 v[72:73], v[227:228], v[52:53]
	v_add_f64 v[74:75], v[231:232], v[54:55]
	;; [unrolled: 1-line block ×3, first 2 shown]
	v_fma_f64 v[54:55], v[104:105], s[2:3], v[225:226]
	v_add_f64 v[250:251], v[2:3], v[252:253]
	v_fma_f64 v[252:253], v[108:109], s[2:3], -v[235:236]
	v_mul_f64 v[227:228], v[221:222], s[28:29]
	v_mul_f64 v[231:232], v[223:224], s[28:29]
	;; [unrolled: 1-line block ×5, first 2 shown]
	v_add_f64 v[52:53], v[54:55], v[52:53]
	v_mul_f64 v[243:244], v[248:249], s[34:35]
	v_add_f64 v[54:55], v[252:253], v[250:251]
	v_fma_f64 v[221:222], v[116:117], s[20:21], v[227:228]
	v_fma_f64 v[250:251], v[118:119], s[20:21], -v[231:232]
	s_load_dwordx2 s[10:11], s[4:5], 0x20
	s_load_dwordx2 s[8:9], s[4:5], 0x8
	s_waitcnt lgkmcnt(0)
	v_fma_f64 v[252:253], v[134:135], s[18:19], -v[241:242]
	s_barrier
	v_fma_f64 v[248:249], v[162:163], s[16:17], -v[243:244]
	v_add_f64 v[52:53], v[221:222], v[52:53]
	v_add_f64 v[54:55], v[250:251], v[54:55]
	v_fma_f64 v[221:222], v[124:125], s[6:7], v[223:224]
	v_fma_f64 v[250:251], v[138:139], s[6:7], -v[239:240]
	v_add_f64 v[52:53], v[221:222], v[52:53]
	v_add_f64 v[54:55], v[250:251], v[54:55]
	v_fma_f64 v[250:251], v[132:133], s[18:19], v[237:238]
	v_mul_f64 v[221:222], v[246:247], s[34:35]
	v_add_f64 v[54:55], v[252:253], v[54:55]
	v_add_f64 v[52:53], v[250:251], v[52:53]
	v_fma_f64 v[246:247], v[158:159], s[16:17], v[221:222]
	v_add_f64 v[54:55], v[248:249], v[54:55]
	v_add_f64 v[52:53], v[246:247], v[52:53]
	s_and_saveexec_b64 s[4:5], s[0:1]
	s_cbranch_execz .LBB0_7
; %bb.6:
	v_mul_f64 v[246:247], v[162:163], s[16:17]
	v_add_f64 v[6:7], v[2:3], v[6:7]
	v_add_f64 v[4:5], v[0:1], v[4:5]
	v_add_f64 v[243:244], v[243:244], v[246:247]
	v_mul_f64 v[246:247], v[134:135], s[18:19]
	v_add_f64 v[6:7], v[6:7], v[10:11]
	v_add_f64 v[4:5], v[4:5], v[8:9]
	v_add_f64 v[241:242], v[241:242], v[246:247]
	;; [unrolled: 4-line block ×5, first 2 shown]
	v_add_f64 v[235:236], v[235:236], v[246:247]
	v_mul_f64 v[246:247], v[98:99], s[22:23]
	v_add_f64 v[6:7], v[6:7], v[26:27]
	v_add_f64 v[4:5], v[4:5], v[24:25]
	;; [unrolled: 1-line block ×3, first 2 shown]
	v_add_f64 v[229:230], v[246:247], -v[229:230]
	v_mul_f64 v[246:247], v[118:119], s[20:21]
	v_mul_f64 v[235:236], v[124:125], s[6:7]
	v_add_f64 v[6:7], v[6:7], v[30:31]
	v_add_f64 v[4:5], v[4:5], v[28:29]
	;; [unrolled: 1-line block ×4, first 2 shown]
	v_mul_f64 v[246:247], v[132:133], s[18:19]
	v_add_f64 v[223:224], v[235:236], -v[223:224]
	v_mul_f64 v[235:236], v[108:109], s[16:17]
	v_add_f64 v[6:7], v[6:7], v[34:35]
	v_add_f64 v[4:5], v[4:5], v[32:33]
	;; [unrolled: 1-line block ×3, first 2 shown]
	v_add_f64 v[237:238], v[246:247], -v[237:238]
	v_mul_f64 v[246:247], v[104:105], s[2:3]
	v_add_f64 v[217:218], v[217:218], v[235:236]
	v_mul_f64 v[233:234], v[158:159], s[16:17]
	v_mul_f64 v[235:236], v[98:99], s[6:7]
	v_add_f64 v[6:7], v[6:7], v[38:39]
	v_add_f64 v[4:5], v[4:5], v[36:37]
	;; [unrolled: 1-line block ×3, first 2 shown]
	v_mul_f64 v[239:240], v[98:99], s[16:17]
	v_add_f64 v[225:226], v[246:247], -v[225:226]
	v_mul_f64 v[246:247], v[116:117], s[20:21]
	v_add_f64 v[221:222], v[233:234], -v[221:222]
	;; [unrolled: 2-line block ×3, first 2 shown]
	v_add_f64 v[6:7], v[6:7], v[42:43]
	v_add_f64 v[231:232], v[241:242], v[231:232]
	v_add_f64 v[140:141], v[239:240], -v[140:141]
	v_add_f64 v[225:226], v[225:226], v[229:230]
	v_add_f64 v[227:228], v[246:247], -v[227:228]
	v_mul_f64 v[246:247], v[94:95], s[20:21]
	v_mul_f64 v[229:230], v[118:119], s[6:7]
	;; [unrolled: 1-line block ×3, first 2 shown]
	v_add_f64 v[4:5], v[4:5], v[40:41]
	v_add_f64 v[36:37], v[6:7], v[46:47]
	;; [unrolled: 1-line block ×5, first 2 shown]
	v_mul_f64 v[229:230], v[138:139], s[22:23]
	v_mul_f64 v[227:228], v[94:95], s[2:3]
	;; [unrolled: 1-line block ×3, first 2 shown]
	v_add_f64 v[4:5], v[4:5], v[44:45]
	v_add_f64 v[223:224], v[223:224], v[225:226]
	;; [unrolled: 1-line block ×3, first 2 shown]
	v_mul_f64 v[225:226], v[134:135], s[2:3]
	v_add_f64 v[213:214], v[213:214], v[229:230]
	v_mul_f64 v[229:230], v[98:99], s[20:21]
	v_mul_f64 v[98:99], v[98:99], s[18:19]
	v_add_f64 v[78:79], v[78:79], v[227:228]
	v_add_f64 v[223:224], v[237:238], v[223:224]
	;; [unrolled: 1-line block ×3, first 2 shown]
	v_mul_f64 v[219:220], v[94:95], s[6:7]
	v_mul_f64 v[237:238], v[116:117], s[6:7]
	v_add_f64 v[201:202], v[229:230], -v[201:202]
	v_mul_f64 v[229:230], v[104:105], s[16:17]
	v_add_f64 v[209:210], v[209:210], v[225:226]
	v_mul_f64 v[225:226], v[162:163], s[18:19]
	v_add_f64 v[98:99], v[98:99], -v[172:173]
	v_add_f64 v[215:216], v[215:216], v[217:218]
	v_mul_f64 v[217:218], v[94:95], s[16:17]
	v_mul_f64 v[94:95], v[94:95], s[18:19]
	v_add_f64 v[201:202], v[0:1], v[201:202]
	v_add_f64 v[203:204], v[229:230], -v[203:204]
	v_add_f64 v[205:206], v[237:238], -v[205:206]
	v_mul_f64 v[237:238], v[108:109], s[20:21]
	v_add_f64 v[211:212], v[211:212], v[225:226]
	v_add_f64 v[213:214], v[213:214], v[215:216]
	v_mul_f64 v[225:226], v[158:159], s[18:19]
	v_add_f64 v[94:95], v[185:186], v[94:95]
	v_mul_f64 v[215:216], v[104:105], s[6:7]
	v_add_f64 v[201:202], v[203:204], v[201:202]
	v_mul_f64 v[229:230], v[108:109], s[6:7]
	v_add_f64 v[186:187], v[187:188], v[237:238]
	v_mul_f64 v[237:238], v[118:119], s[2:3]
	v_add_f64 v[209:210], v[209:210], v[213:214]
	v_mul_f64 v[213:214], v[124:125], s[22:23]
	v_add_f64 v[94:95], v[2:3], v[94:95]
	v_mul_f64 v[203:204], v[104:105], s[18:19]
	v_mul_f64 v[184:185], v[108:109], s[18:19]
	v_add_f64 v[207:208], v[225:226], -v[207:208]
	v_mul_f64 v[225:226], v[132:133], s[2:3]
	v_mul_f64 v[108:109], v[108:109], s[22:23]
	v_add_f64 v[201:202], v[205:206], v[201:202]
	v_add_f64 v[197:198], v[213:214], -v[197:198]
	v_mul_f64 v[213:214], v[104:105], s[22:23]
	v_mul_f64 v[104:105], v[104:105], s[20:21]
	;; [unrolled: 1-line block ×3, first 2 shown]
	v_add_f64 v[188:189], v[189:190], v[237:238]
	v_add_f64 v[94:95], v[186:187], v[94:95]
	;; [unrolled: 1-line block ×3, first 2 shown]
	v_add_f64 v[199:200], v[225:226], -v[199:200]
	v_mul_f64 v[225:226], v[116:117], s[16:17]
	v_mul_f64 v[237:238], v[118:119], s[16:17]
	;; [unrolled: 1-line block ×3, first 2 shown]
	v_add_f64 v[197:198], v[197:198], v[201:202]
	v_mul_f64 v[201:202], v[118:119], s[22:23]
	v_add_f64 v[190:191], v[191:192], v[205:206]
	v_mul_f64 v[205:206], v[116:117], s[18:19]
	v_mul_f64 v[118:119], v[118:119], s[18:19]
	;; [unrolled: 1-line block ×4, first 2 shown]
	v_add_f64 v[94:95], v[188:189], v[94:95]
	v_add_f64 v[104:105], v[104:105], -v[174:175]
	v_add_f64 v[98:99], v[0:1], v[98:99]
	v_add_f64 v[108:109], v[168:169], v[108:109]
	;; [unrolled: 1-line block ×5, first 2 shown]
	v_mul_f64 v[199:200], v[138:139], s[18:19]
	v_add_f64 v[172:173], v[193:194], v[172:173]
	v_mul_f64 v[192:193], v[162:163], s[6:7]
	v_add_f64 v[94:95], v[190:191], v[94:95]
	v_mul_f64 v[190:191], v[138:139], s[20:21]
	v_add_f64 v[116:117], v[116:117], -v[178:179]
	v_mul_f64 v[138:139], v[138:139], s[2:3]
	v_add_f64 v[98:99], v[104:105], v[98:99]
	v_add_f64 v[118:119], v[152:153], v[118:119]
	;; [unrolled: 1-line block ×6, first 2 shown]
	v_mul_f64 v[192:193], v[134:135], s[20:21]
	v_add_f64 v[8:9], v[154:155], v[138:139]
	v_add_f64 v[98:99], v[116:117], v[98:99]
	v_mul_f64 v[116:117], v[134:135], s[16:17]
	v_mul_f64 v[134:135], v[134:135], s[6:7]
	v_add_f64 v[10:11], v[213:214], -v[146:147]
	v_add_f64 v[138:139], v[0:1], v[140:141]
	v_add_f64 v[108:109], v[118:119], v[108:109]
	v_add_f64 v[118:119], v[126:127], v[201:202]
	v_add_f64 v[120:121], v[120:121], v[144:145]
	v_add_f64 v[14:15], v[205:206], -v[148:149]
	v_add_f64 v[2:3], v[2:3], v[78:79]
	v_add_f64 v[12:13], v[164:165], v[134:135]
	v_add_f64 v[78:79], v[215:216], -v[80:81]
	v_add_f64 v[10:11], v[10:11], v[138:139]
	v_add_f64 v[8:9], v[8:9], v[108:109]
	;; [unrolled: 1-line block ×4, first 2 shown]
	v_add_f64 v[26:27], v[203:204], -v[110:111]
	v_mul_f64 v[188:189], v[124:125], s[18:19]
	v_add_f64 v[28:29], v[86:87], v[237:238]
	v_add_f64 v[30:31], v[225:226], -v[84:85]
	v_add_f64 v[10:11], v[14:15], v[10:11]
	v_add_f64 v[8:9], v[12:13], v[8:9]
	;; [unrolled: 1-line block ×4, first 2 shown]
	v_mul_f64 v[174:175], v[124:125], s[20:21]
	v_mul_f64 v[178:179], v[124:125], s[2:3]
	;; [unrolled: 1-line block ×4, first 2 shown]
	v_add_f64 v[32:33], v[92:93], v[199:200]
	v_add_f64 v[172:173], v[172:173], v[94:95]
	v_mul_f64 v[94:95], v[132:133], s[22:23]
	v_add_f64 v[12:13], v[12:13], v[14:15]
	v_add_f64 v[14:15], v[233:234], -v[76:77]
	v_add_f64 v[76:77], v[82:83], v[229:230]
	v_add_f64 v[124:125], v[124:125], -v[176:177]
	v_mul_f64 v[176:177], v[132:133], s[16:17]
	v_mul_f64 v[132:133], v[132:133], s[6:7]
	v_add_f64 v[18:19], v[178:179], -v[150:151]
	v_add_f64 v[182:183], v[194:195], -v[182:183]
	v_mul_f64 v[194:195], v[162:163], s[2:3]
	v_add_f64 v[14:15], v[0:1], v[14:15]
	v_add_f64 v[0:1], v[0:1], v[24:25]
	v_add_f64 v[2:3], v[76:77], v[2:3]
	v_add_f64 v[24:25], v[186:187], -v[112:113]
	v_mul_f64 v[217:218], v[158:159], s[22:23]
	v_mul_f64 v[162:163], v[162:163], s[20:21]
	;; [unrolled: 1-line block ×4, first 2 shown]
	v_add_f64 v[14:15], v[78:79], v[14:15]
	v_add_f64 v[0:1], v[26:27], v[0:1]
	;; [unrolled: 1-line block ×3, first 2 shown]
	v_add_f64 v[28:29], v[188:189], -v[88:89]
	v_add_f64 v[26:27], v[174:175], -v[114:115]
	;; [unrolled: 1-line block ×3, first 2 shown]
	v_add_f64 v[10:11], v[18:19], v[10:11]
	v_add_f64 v[180:181], v[94:95], -v[180:181]
	v_add_f64 v[14:15], v[30:31], v[14:15]
	v_add_f64 v[0:1], v[24:25], v[0:1]
	;; [unrolled: 1-line block ×4, first 2 shown]
	v_add_f64 v[32:33], v[241:242], -v[90:91]
	v_add_f64 v[24:25], v[176:177], -v[122:123]
	v_add_f64 v[124:125], v[124:125], v[98:99]
	v_add_f64 v[18:19], v[142:143], v[194:195]
	;; [unrolled: 1-line block ×7, first 2 shown]
	v_add_f64 v[34:35], v[217:218], -v[100:101]
	v_add_f64 v[26:27], v[168:169], -v[130:131]
	;; [unrolled: 1-line block ×3, first 2 shown]
	v_add_f64 v[32:33], v[32:33], v[14:15]
	v_add_f64 v[0:1], v[24:25], v[0:1]
	;; [unrolled: 1-line block ×18, first 2 shown]
	v_mul_lo_u16_e32 v16, 13, v255
	v_add_lshl_u32 v16, v245, v16, 4
	ds_write_b128 v16, v[12:15]
	ds_write_b128 v16, v[8:11] offset:16
	ds_write_b128 v16, v[4:7] offset:32
	;; [unrolled: 1-line block ×12, first 2 shown]
.LBB0_7:
	s_or_b64 exec, exec, s[4:5]
	v_add_lshl_u32 v184, v245, v255, 4
	s_waitcnt lgkmcnt(0)
	s_barrier
	ds_read_b128 v[56:59], v184
	ds_read_b128 v[100:103], v184 offset:2288
	ds_read_b128 v[96:99], v184 offset:4576
	;; [unrolled: 1-line block ×6, first 2 shown]
	v_cmp_gt_u16_e64 s[2:3], 52, v255
                                        ; implicit-def: $vgpr76_vgpr77
	s_and_saveexec_b64 s[4:5], s[2:3]
	s_cbranch_execz .LBB0_9
; %bb.8:
	ds_read_b128 v[52:55], v184 offset:1456
	ds_read_b128 v[72:75], v184 offset:3744
	;; [unrolled: 1-line block ×7, first 2 shown]
.LBB0_9:
	s_or_b64 exec, exec, s[4:5]
	s_movk_i32 s4, 0x4f
	v_mul_lo_u16_sdwa v0, v255, s4 dst_sel:DWORD dst_unused:UNUSED_PAD src0_sel:BYTE_0 src1_sel:DWORD
	v_lshrrev_b16_e32 v104, 10, v0
	v_mul_lo_u16_e32 v0, 13, v104
	v_sub_u16_e32 v105, v255, v0
	v_mov_b32_e32 v0, 6
	v_mul_u32_u24_sdwa v1, v105, v0 dst_sel:DWORD dst_unused:UNUSED_PAD src0_sel:BYTE_0 src1_sel:DWORD
	v_lshlrev_b32_e32 v1, 4, v1
	global_load_dwordx4 v[32:35], v1, s[8:9] offset:16
	global_load_dwordx4 v[36:39], v1, s[8:9]
	global_load_dwordx4 v[24:27], v1, s[8:9] offset:48
	global_load_dwordx4 v[28:31], v1, s[8:9] offset:32
	;; [unrolled: 1-line block ×4, first 2 shown]
	v_add_u16_e32 v1, 0x5b, v255
	v_mul_lo_u16_sdwa v2, v1, s4 dst_sel:DWORD dst_unused:UNUSED_PAD src0_sel:BYTE_0 src1_sel:DWORD
	v_lshrrev_b16_e32 v2, 10, v2
	buffer_store_dword v2, off, s[52:55], 0 offset:28 ; 4-byte Folded Spill
	v_mul_lo_u16_e32 v2, 13, v2
	v_sub_u16_e32 v1, v1, v2
	v_mul_u32_u24_sdwa v0, v1, v0 dst_sel:DWORD dst_unused:UNUSED_PAD src0_sel:BYTE_0 src1_sel:DWORD
	buffer_store_dword v1, off, s[52:55], 0 offset:32 ; 4-byte Folded Spill
	v_lshlrev_b32_e32 v0, 4, v0
	global_load_dwordx4 v[9:12], v0, s[8:9]
	global_load_dwordx4 v[13:16], v0, s[8:9] offset:16
	global_load_dwordx4 v[5:8], v0, s[8:9] offset:32
	;; [unrolled: 1-line block ×5, first 2 shown]
	s_load_dwordx4 s[4:7], s[10:11], 0x0
	s_mov_b32 s16, 0x37e14327
	s_mov_b32 s10, 0x36b3c0b5
	s_mov_b32 s18, 0x429ad128
	s_mov_b32 s17, 0x3fe948f6
	s_mov_b32 s11, 0x3fac98ee
	s_mov_b32 s19, 0x3febfeb5
	s_mov_b32 s20, 0xe976ee23
	s_mov_b32 s22, 0xaaaaaaaa
	s_mov_b32 s24, 0x5476071b
	s_mov_b32 s28, 0xb247c609
	s_mov_b32 s21, 0xbfe11646
	s_mov_b32 s23, 0xbff2aaaa
	s_mov_b32 s25, 0x3fe77f67
	s_mov_b32 s27, 0xbfe77f67
	s_mov_b32 s26, s24
	s_mov_b32 s29, 0x3fd5d0dc
	s_mov_b32 s35, 0xbfd5d0dc
	s_mov_b32 s34, s28
	s_mov_b32 s30, 0x37c3f68c
	s_mov_b32 s31, 0x3fdc38aa
	s_waitcnt vmcnt(13) lgkmcnt(0)
	v_mul_f64 v[110:111], v[98:99], v[34:35]
	s_waitcnt vmcnt(12)
	v_mul_f64 v[106:107], v[102:103], v[38:39]
	v_mul_f64 v[108:109], v[100:101], v[38:39]
	v_mul_f64 v[112:113], v[96:97], v[34:35]
	s_waitcnt vmcnt(9)
	v_mul_f64 v[126:127], v[82:83], v[42:43]
	s_waitcnt vmcnt(8)
	v_mul_f64 v[122:123], v[86:87], v[46:47]
	v_mul_f64 v[124:125], v[84:85], v[46:47]
	;; [unrolled: 1-line block ×5, first 2 shown]
	s_waitcnt vmcnt(5)
	v_mul_f64 v[130:131], v[74:75], v[11:12]
	s_waitcnt vmcnt(4)
	v_mul_f64 v[134:135], v[70:71], v[15:16]
	;; [unrolled: 2-line block ×6, first 2 shown]
	v_mul_f64 v[132:133], v[72:73], v[11:12]
	v_mul_f64 v[136:137], v[68:69], v[15:16]
	;; [unrolled: 1-line block ×6, first 2 shown]
	v_fma_f64 v[84:85], v[84:85], v[44:45], -v[122:123]
	v_fma_f64 v[72:73], v[72:73], v[9:10], -v[130:131]
	buffer_store_dword v9, off, s[52:55], 0 offset:84 ; 4-byte Folded Spill
	s_nop 0
	buffer_store_dword v10, off, s[52:55], 0 offset:88 ; 4-byte Folded Spill
	buffer_store_dword v11, off, s[52:55], 0 offset:92 ; 4-byte Folded Spill
	buffer_store_dword v12, off, s[52:55], 0 offset:96 ; 4-byte Folded Spill
	v_fma_f64 v[68:69], v[68:69], v[13:14], -v[134:135]
	buffer_store_dword v13, off, s[52:55], 0 offset:100 ; 4-byte Folded Spill
	s_nop 0
	buffer_store_dword v14, off, s[52:55], 0 offset:104 ; 4-byte Folded Spill
	buffer_store_dword v15, off, s[52:55], 0 offset:108 ; 4-byte Folded Spill
	buffer_store_dword v16, off, s[52:55], 0 offset:112 ; 4-byte Folded Spill
	;; [unrolled: 6-line block ×6, first 2 shown]
	v_mul_f64 v[118:119], v[90:91], v[26:27]
	v_mul_f64 v[120:121], v[88:89], v[26:27]
	v_fma_f64 v[100:101], v[100:101], v[36:37], -v[106:107]
	v_fma_f64 v[102:103], v[102:103], v[36:37], v[108:109]
	v_fma_f64 v[96:97], v[96:97], v[32:33], -v[110:111]
	v_fma_f64 v[98:99], v[98:99], v[32:33], v[112:113]
	v_fma_f64 v[86:87], v[86:87], v[44:45], v[124:125]
	v_fma_f64 v[80:81], v[80:81], v[40:41], -v[126:127]
	v_fma_f64 v[82:83], v[82:83], v[40:41], v[128:129]
	v_fma_f64 v[92:93], v[92:93], v[28:29], -v[114:115]
	;; [unrolled: 2-line block ×3, first 2 shown]
	v_fma_f64 v[90:91], v[90:91], v[24:25], v[120:121]
	v_add_f64 v[106:107], v[100:101], v[80:81]
	v_add_f64 v[108:109], v[102:103], v[82:83]
	v_add_f64 v[80:81], v[100:101], -v[80:81]
	v_add_f64 v[82:83], v[102:103], -v[82:83]
	v_add_f64 v[100:101], v[96:97], v[84:85]
	v_add_f64 v[102:103], v[98:99], v[86:87]
	v_add_f64 v[84:85], v[96:97], -v[84:85]
	v_add_f64 v[86:87], v[98:99], -v[86:87]
	;; [unrolled: 4-line block ×4, first 2 shown]
	v_add_f64 v[106:107], v[106:107], -v[96:97]
	v_add_f64 v[108:109], v[108:109], -v[98:99]
	;; [unrolled: 1-line block ×4, first 2 shown]
	v_add_f64 v[114:115], v[88:89], v[84:85]
	v_add_f64 v[116:117], v[90:91], v[86:87]
	v_add_f64 v[118:119], v[88:89], -v[84:85]
	v_add_f64 v[120:121], v[90:91], -v[86:87]
	;; [unrolled: 1-line block ×4, first 2 shown]
	v_add_f64 v[92:93], v[96:97], v[92:93]
	v_add_f64 v[94:95], v[98:99], v[94:95]
	v_add_f64 v[88:89], v[80:81], -v[88:89]
	v_add_f64 v[90:91], v[82:83], -v[90:91]
	v_add_f64 v[96:97], v[114:115], v[80:81]
	v_add_f64 v[98:99], v[116:117], v[82:83]
	v_mul_f64 v[106:107], v[106:107], s[16:17]
	v_mul_f64 v[108:109], v[108:109], s[16:17]
	;; [unrolled: 1-line block ×4, first 2 shown]
	v_add_f64 v[80:81], v[56:57], v[92:93]
	v_add_f64 v[82:83], v[58:59], v[94:95]
	v_mul_f64 v[56:57], v[84:85], s[18:19]
	v_mul_f64 v[58:59], v[86:87], s[18:19]
	;; [unrolled: 1-line block ×4, first 2 shown]
	v_fma_f64 v[100:101], v[100:101], s[10:11], v[106:107]
	v_fma_f64 v[102:103], v[102:103], s[10:11], v[108:109]
	v_fma_f64 v[114:115], v[110:111], s[24:25], -v[114:115]
	v_fma_f64 v[116:117], v[112:113], s[24:25], -v[116:117]
	v_fma_f64 v[92:93], v[92:93], s[22:23], v[80:81]
	v_fma_f64 v[94:95], v[94:95], s[22:23], v[82:83]
	v_fma_f64 v[106:107], v[110:111], s[26:27], -v[106:107]
	v_fma_f64 v[108:109], v[112:113], s[26:27], -v[108:109]
	;; [unrolled: 1-line block ×4, first 2 shown]
	v_fma_f64 v[74:75], v[74:75], v[9:10], v[132:133]
	v_fma_f64 v[70:71], v[70:71], v[13:14], v[136:137]
	;; [unrolled: 1-line block ×4, first 2 shown]
	v_fma_f64 v[84:85], v[84:85], s[18:19], -v[118:119]
	v_fma_f64 v[86:87], v[86:87], s[18:19], -v[120:121]
	v_add_f64 v[88:89], v[100:101], v[92:93]
	v_fma_f64 v[50:51], v[50:51], v[154:155], v[148:149]
	v_add_f64 v[90:91], v[102:103], v[94:95]
	v_add_f64 v[114:115], v[114:115], v[92:93]
	;; [unrolled: 1-line block ×5, first 2 shown]
	v_fma_f64 v[58:59], v[98:99], s[30:31], v[58:59]
	v_fma_f64 v[56:57], v[96:97], s[30:31], v[56:57]
	;; [unrolled: 1-line block ×9, first 2 shown]
	v_add_f64 v[84:85], v[58:59], v[92:93]
	v_add_f64 v[86:87], v[94:95], -v[56:57]
	v_add_f64 v[110:111], v[92:93], -v[58:59]
	v_add_f64 v[112:113], v[56:57], v[94:95]
	v_add_f64 v[56:57], v[72:73], v[122:123]
	;; [unrolled: 1-line block ×5, first 2 shown]
	v_add_f64 v[48:49], v[68:69], -v[48:49]
	v_add_f64 v[50:51], v[70:71], -v[50:51]
	v_add_f64 v[68:69], v[64:65], v[60:61]
	v_add_f64 v[70:71], v[66:67], v[62:63]
	v_add_f64 v[60:61], v[60:61], -v[64:65]
	v_add_f64 v[62:63], v[62:63], -v[66:67]
	v_add_f64 v[64:65], v[92:93], v[56:57]
	v_add_f64 v[66:67], v[94:95], v[58:59]
	v_add_f64 v[72:73], v[72:73], -v[122:123]
	v_add_f64 v[74:75], v[74:75], -v[124:125]
	v_add_f64 v[100:101], v[114:115], -v[98:99]
	v_add_f64 v[102:103], v[96:97], v[116:117]
	v_add_f64 v[106:107], v[98:99], v[114:115]
	v_add_f64 v[108:109], v[116:117], -v[96:97]
	v_add_f64 v[96:97], v[92:93], -v[56:57]
	;; [unrolled: 1-line block ×7, first 2 shown]
	v_add_f64 v[114:115], v[60:61], v[48:49]
	v_add_f64 v[116:117], v[62:63], v[50:51]
	v_add_f64 v[122:123], v[60:61], -v[48:49]
	v_add_f64 v[124:125], v[62:63], -v[50:51]
	v_add_f64 v[64:65], v[68:69], v[64:65]
	v_add_f64 v[66:67], v[70:71], v[66:67]
	v_add_f64 v[68:69], v[48:49], -v[72:73]
	v_add_f64 v[70:71], v[50:51], -v[74:75]
	;; [unrolled: 1-line block ×4, first 2 shown]
	v_add_f64 v[114:115], v[114:115], v[72:73]
	v_add_f64 v[116:117], v[116:117], v[74:75]
	;; [unrolled: 1-line block ×4, first 2 shown]
	v_mul_f64 v[52:53], v[56:57], s[16:17]
	v_mul_f64 v[54:55], v[58:59], s[16:17]
	v_mul_f64 v[56:57], v[92:93], s[10:11]
	v_mul_f64 v[58:59], v[94:95], s[10:11]
	v_mul_f64 v[72:73], v[122:123], s[20:21]
	v_mul_f64 v[74:75], v[124:125], s[20:21]
	v_mul_f64 v[122:123], v[68:69], s[18:19]
	v_mul_f64 v[124:125], v[70:71], s[18:19]
	v_fma_f64 v[64:65], v[64:65], s[22:23], v[48:49]
	v_fma_f64 v[66:67], v[66:67], s[22:23], v[50:51]
	;; [unrolled: 1-line block ×4, first 2 shown]
	v_fma_f64 v[56:57], v[96:97], s[24:25], -v[56:57]
	v_fma_f64 v[126:127], v[98:99], s[24:25], -v[58:59]
	;; [unrolled: 1-line block ×4, first 2 shown]
	v_fma_f64 v[128:129], v[60:61], s[28:29], v[72:73]
	v_fma_f64 v[130:131], v[62:63], s[28:29], v[74:75]
	v_fma_f64 v[70:71], v[70:71], s[18:19], -v[74:75]
	v_fma_f64 v[72:73], v[68:69], s[18:19], -v[72:73]
	;; [unrolled: 1-line block ×4, first 2 shown]
	v_add_f64 v[52:53], v[92:93], v[64:65]
	v_add_f64 v[58:59], v[94:95], v[66:67]
	v_add_f64 v[54:55], v[56:57], v[64:65]
	v_add_f64 v[68:69], v[126:127], v[66:67]
	v_add_f64 v[56:57], v[96:97], v[64:65]
	v_add_f64 v[64:65], v[98:99], v[66:67]
	v_fma_f64 v[60:61], v[116:117], s[30:31], v[70:71]
	v_fma_f64 v[66:67], v[116:117], s[30:31], v[130:131]
	;; [unrolled: 1-line block ×6, first 2 shown]
	v_add_f64 v[76:77], v[118:119], v[88:89]
	v_add_f64 v[78:79], v[90:91], -v[120:121]
	v_add_f64 v[92:93], v[60:61], v[54:55]
	v_add_f64 v[0:1], v[52:53], -v[66:67]
	;; [unrolled: 2-line block ×3, first 2 shown]
	v_add_f64 v[96:97], v[56:57], -v[62:63]
	v_add_f64 v[98:99], v[72:73], v[64:65]
	buffer_store_dword v0, off, s[52:55], 0 offset:12 ; 4-byte Folded Spill
	s_nop 0
	buffer_store_dword v1, off, s[52:55], 0 offset:16 ; 4-byte Folded Spill
	buffer_store_dword v2, off, s[52:55], 0 offset:20 ; 4-byte Folded Spill
	;; [unrolled: 1-line block ×3, first 2 shown]
	v_mul_u32_u24_e32 v0, 0x5b, v104
	v_add_f64 v[114:115], v[88:89], -v[118:119]
	v_add_f64 v[116:117], v[120:121], v[90:91]
	v_add_u32_sdwa v0, v0, v105 dst_sel:DWORD dst_unused:UNUSED_PAD src0_sel:DWORD src1_sel:BYTE_0
	v_add_lshl_u32 v91, v245, v0, 4
	s_waitcnt vmcnt(0)
	s_barrier
	ds_write_b128 v91, v[80:83]
	ds_write_b128 v91, v[76:79] offset:208
	ds_write_b128 v91, v[84:87] offset:416
	;; [unrolled: 1-line block ×6, first 2 shown]
	s_and_saveexec_b64 s[10:11], s[2:3]
	s_cbranch_execz .LBB0_11
; %bb.10:
	buffer_load_dword v0, off, s[52:55], 0 offset:28 ; 4-byte Folded Reload
	buffer_load_dword v1, off, s[52:55], 0 offset:32 ; 4-byte Folded Reload
	v_add_f64 v[64:65], v[64:65], -v[72:73]
	v_add_f64 v[72:73], v[58:59], -v[70:71]
	v_add_f64 v[70:71], v[66:67], v[52:53]
	v_add_f64 v[62:63], v[62:63], v[56:57]
	;; [unrolled: 1-line block ×3, first 2 shown]
	v_add_f64 v[66:67], v[54:55], -v[60:61]
	s_waitcnt vmcnt(1)
	v_mul_u32_u24_e32 v0, 0x5b, v0
	s_waitcnt vmcnt(0)
	v_add_u32_sdwa v0, v0, v1 dst_sel:DWORD dst_unused:UNUSED_PAD src0_sel:DWORD src1_sel:BYTE_0
	v_add_lshl_u32 v0, v245, v0, 4
	ds_write_b128 v0, v[48:51]
	ds_write_b128 v0, v[70:73] offset:208
	ds_write_b128 v0, v[62:65] offset:416
	;; [unrolled: 1-line block ×5, first 2 shown]
	buffer_load_dword v1, off, s[52:55], 0 offset:12 ; 4-byte Folded Reload
	buffer_load_dword v2, off, s[52:55], 0 offset:16 ; 4-byte Folded Reload
	;; [unrolled: 1-line block ×4, first 2 shown]
	s_waitcnt vmcnt(0)
	ds_write_b128 v0, v[1:4] offset:1248
.LBB0_11:
	s_or_b64 exec, exec, s[10:11]
	v_mov_b32_e32 v49, s9
	s_movk_i32 s10, 0xa0
	v_mov_b32_e32 v48, s8
	v_mad_u64_u32 v[88:89], s[8:9], v255, s10, v[48:49]
	s_waitcnt lgkmcnt(0)
	s_barrier
	global_load_dwordx4 v[84:87], v[88:89], off offset:1248
	global_load_dwordx4 v[76:79], v[88:89], off offset:1264
	;; [unrolled: 1-line block ×10, first 2 shown]
	ds_read_b128 v[102:105], v184
	ds_read_b128 v[106:109], v184 offset:1456
	ds_read_b128 v[110:113], v184 offset:2912
	;; [unrolled: 1-line block ×10, first 2 shown]
	s_mov_b32 s28, 0xf8bb580b
	s_mov_b32 s29, 0xbfe14ced
	;; [unrolled: 1-line block ×26, first 2 shown]
	s_waitcnt vmcnt(9) lgkmcnt(9)
	v_mul_f64 v[88:89], v[108:109], v[86:87]
	v_mul_f64 v[100:101], v[106:107], v[86:87]
	s_waitcnt vmcnt(8) lgkmcnt(8)
	v_mul_f64 v[146:147], v[112:113], v[78:79]
	s_waitcnt vmcnt(7) lgkmcnt(7)
	v_mul_f64 v[150:151], v[116:117], v[62:63]
	s_waitcnt vmcnt(6) lgkmcnt(6)
	v_mul_f64 v[154:155], v[120:121], v[54:55]
	s_waitcnt vmcnt(5) lgkmcnt(5)
	v_mul_f64 v[158:159], v[124:125], v[82:83]
	s_waitcnt vmcnt(4) lgkmcnt(4)
	v_mul_f64 v[162:163], v[128:129], v[66:67]
	s_waitcnt vmcnt(2) lgkmcnt(2)
	v_mul_f64 v[170:171], v[136:137], v[2:3]
	v_mul_f64 v[172:173], v[134:135], v[2:3]
	;; [unrolled: 1-line block ×3, first 2 shown]
	s_waitcnt vmcnt(1) lgkmcnt(1)
	v_mul_f64 v[174:175], v[140:141], v[70:71]
	s_waitcnt vmcnt(0) lgkmcnt(0)
	v_mul_f64 v[178:179], v[144:145], v[74:75]
	v_fma_f64 v[88:89], v[106:107], v[84:85], -v[88:89]
	v_mul_f64 v[148:149], v[110:111], v[78:79]
	v_mul_f64 v[152:153], v[114:115], v[62:63]
	v_fma_f64 v[134:135], v[134:135], v[0:1], -v[170:171]
	buffer_store_dword v0, off, s[52:55], 0 offset:36 ; 4-byte Folded Spill
	s_nop 0
	buffer_store_dword v1, off, s[52:55], 0 offset:40 ; 4-byte Folded Spill
	buffer_store_dword v2, off, s[52:55], 0 offset:44 ; 4-byte Folded Spill
	buffer_store_dword v3, off, s[52:55], 0 offset:48 ; 4-byte Folded Spill
	v_mul_f64 v[156:157], v[118:119], v[54:55]
	v_mul_f64 v[160:161], v[122:123], v[82:83]
	;; [unrolled: 1-line block ×6, first 2 shown]
	v_fma_f64 v[100:101], v[108:109], v[84:85], v[100:101]
	v_fma_f64 v[106:107], v[110:111], v[76:77], -v[146:147]
	v_fma_f64 v[110:111], v[114:115], v[60:61], -v[150:151]
	;; [unrolled: 1-line block ×8, first 2 shown]
	v_add_f64 v[142:143], v[102:103], v[88:89]
	v_fma_f64 v[108:109], v[112:113], v[76:77], v[148:149]
	v_fma_f64 v[112:113], v[116:117], v[60:61], v[152:153]
	;; [unrolled: 1-line block ×8, first 2 shown]
	v_add_f64 v[144:145], v[104:105], v[100:101]
	v_add_f64 v[150:151], v[106:107], v[138:139]
	v_add_f64 v[154:155], v[106:107], -v[138:139]
	v_add_f64 v[106:107], v[142:143], v[106:107]
	v_add_f64 v[146:147], v[88:89], v[130:131]
	v_add_f64 v[88:89], v[88:89], -v[130:131]
	;; [unrolled: 3-line block ×3, first 2 shown]
	v_add_f64 v[108:109], v[144:145], v[108:109]
	v_add_f64 v[100:101], v[100:101], -v[132:133]
	v_add_f64 v[106:107], v[106:107], v[110:111]
	v_mul_f64 v[176:177], v[154:155], s[24:25]
	v_mul_f64 v[144:145], v[88:89], s[28:29]
	;; [unrolled: 1-line block ×5, first 2 shown]
	v_add_f64 v[108:109], v[108:109], v[112:113]
	v_mul_f64 v[142:143], v[100:101], s[28:29]
	v_add_f64 v[106:107], v[106:107], v[114:115]
	v_mul_f64 v[158:159], v[100:101], s[18:19]
	v_mul_f64 v[162:163], v[100:101], s[16:17]
	;; [unrolled: 1-line block ×5, first 2 shown]
	v_add_f64 v[108:109], v[108:109], v[116:117]
	v_mul_f64 v[170:171], v[156:157], s[18:19]
	v_add_f64 v[106:107], v[106:107], v[118:119]
	v_fma_f64 v[178:179], v[146:147], s[20:21], -v[142:143]
	v_fma_f64 v[180:181], v[148:149], s[20:21], v[144:145]
	v_fma_f64 v[144:145], v[148:149], s[20:21], -v[144:145]
	v_fma_f64 v[142:143], v[146:147], s[20:21], v[142:143]
	v_fma_f64 v[182:183], v[146:147], s[8:9], -v[158:159]
	v_add_f64 v[108:109], v[108:109], v[120:121]
	v_fma_f64 v[185:186], v[148:149], s[8:9], v[160:161]
	v_add_f64 v[106:107], v[106:107], v[122:123]
	v_fma_f64 v[158:159], v[146:147], s[8:9], v[158:159]
	v_fma_f64 v[160:161], v[148:149], s[8:9], -v[160:161]
	v_fma_f64 v[187:188], v[146:147], s[10:11], -v[162:163]
	v_fma_f64 v[189:190], v[148:149], s[10:11], v[164:165]
	v_fma_f64 v[162:163], v[146:147], s[10:11], v[162:163]
	v_add_f64 v[108:109], v[108:109], v[124:125]
	v_fma_f64 v[164:165], v[148:149], s[10:11], -v[164:165]
	v_add_f64 v[106:107], v[106:107], v[126:127]
	v_fma_f64 v[191:192], v[146:147], s[22:23], -v[166:167]
	v_fma_f64 v[193:194], v[148:149], s[22:23], v[168:169]
	v_fma_f64 v[166:167], v[146:147], s[22:23], v[166:167]
	v_fma_f64 v[168:169], v[148:149], s[22:23], -v[168:169]
	v_fma_f64 v[195:196], v[146:147], s[26:27], -v[100:101]
	v_add_f64 v[108:109], v[108:109], v[128:129]
	v_fma_f64 v[197:198], v[148:149], s[26:27], v[88:89]
	v_add_f64 v[106:107], v[106:107], v[134:135]
	v_fma_f64 v[136:137], v[136:137], v[0:1], v[172:173]
	v_mul_f64 v[172:173], v[154:155], s[18:19]
	v_fma_f64 v[100:101], v[146:147], s[26:27], v[100:101]
	v_fma_f64 v[88:89], v[148:149], s[26:27], -v[88:89]
	v_fma_f64 v[146:147], v[150:151], s[8:9], -v[170:171]
	v_add_f64 v[178:179], v[102:103], v[178:179]
	v_add_f64 v[144:145], v[104:105], v[144:145]
	;; [unrolled: 1-line block ×4, first 2 shown]
	v_fma_f64 v[148:149], v[152:153], s[8:9], v[172:173]
	v_fma_f64 v[172:173], v[152:153], s[8:9], -v[172:173]
	v_mul_f64 v[174:175], v[156:157], s[24:25]
	v_fma_f64 v[170:171], v[150:151], s[8:9], v[170:171]
	v_add_f64 v[180:181], v[104:105], v[180:181]
	v_add_f64 v[142:143], v[102:103], v[142:143]
	;; [unrolled: 1-line block ×17, first 2 shown]
	v_mul_f64 v[144:145], v[156:157], s[38:39]
	v_mul_f64 v[146:147], v[154:155], s[38:39]
	v_fma_f64 v[199:200], v[150:151], s[22:23], -v[174:175]
	v_add_f64 v[182:183], v[102:103], v[182:183]
	v_add_f64 v[158:159], v[102:103], v[158:159]
	;; [unrolled: 1-line block ×8, first 2 shown]
	v_fma_f64 v[142:143], v[152:153], s[22:23], v[176:177]
	v_fma_f64 v[170:171], v[150:151], s[22:23], v[174:175]
	v_fma_f64 v[172:173], v[152:153], s[22:23], -v[176:177]
	v_fma_f64 v[174:175], v[150:151], s[26:27], -v[144:145]
	v_fma_f64 v[176:177], v[152:153], s[26:27], v[146:147]
	v_fma_f64 v[146:147], v[152:153], s[26:27], -v[146:147]
	v_mul_f64 v[180:181], v[154:155], s[36:37]
	v_mul_f64 v[148:149], v[156:157], s[36:37]
	v_fma_f64 v[144:145], v[150:151], s[26:27], v[144:145]
	v_add_f64 v[158:159], v[170:171], v[158:159]
	v_add_f64 v[160:161], v[172:173], v[160:161]
	;; [unrolled: 1-line block ×3, first 2 shown]
	v_add_f64 v[174:175], v[112:113], -v[136:137]
	v_add_f64 v[146:147], v[146:147], v[164:165]
	v_fma_f64 v[164:165], v[152:153], s[10:11], v[180:181]
	v_fma_f64 v[178:179], v[150:151], s[10:11], -v[148:149]
	v_add_f64 v[172:173], v[176:177], v[189:190]
	v_fma_f64 v[148:149], v[150:151], s[10:11], v[148:149]
	v_mul_f64 v[156:157], v[156:157], s[34:35]
	v_mul_f64 v[154:155], v[154:155], s[34:35]
	v_fma_f64 v[176:177], v[152:153], s[10:11], -v[180:181]
	v_add_f64 v[144:145], v[144:145], v[162:163]
	v_add_f64 v[138:139], v[164:165], v[138:139]
	v_add_f64 v[164:165], v[110:111], -v[134:135]
	v_add_f64 v[110:111], v[110:111], v[134:135]
	v_mul_f64 v[134:135], v[174:175], s[16:17]
	v_add_f64 v[162:163], v[178:179], v[191:192]
	v_add_f64 v[140:141], v[148:149], v[140:141]
	v_fma_f64 v[148:149], v[150:151], s[20:21], -v[156:157]
	v_fma_f64 v[178:179], v[152:153], s[20:21], v[154:155]
	v_add_f64 v[166:167], v[176:177], v[166:167]
	v_add_f64 v[112:113], v[112:113], v[136:137]
	v_mul_f64 v[136:137], v[164:165], s[16:17]
	v_fma_f64 v[152:153], v[152:153], s[20:21], -v[154:155]
	v_fma_f64 v[154:155], v[110:111], s[10:11], -v[134:135]
	v_mul_f64 v[176:177], v[164:165], s[38:39]
	v_add_f64 v[142:143], v[142:143], v[185:186]
	v_fma_f64 v[150:151], v[150:151], s[20:21], v[156:157]
	v_add_f64 v[148:149], v[148:149], v[168:169]
	v_add_f64 v[156:157], v[178:179], v[193:194]
	v_mul_f64 v[168:169], v[174:175], s[38:39]
	v_fma_f64 v[178:179], v[112:113], s[10:11], v[136:137]
	v_add_f64 v[104:105], v[154:155], v[104:105]
	v_fma_f64 v[134:135], v[110:111], s[10:11], v[134:135]
	v_fma_f64 v[136:137], v[112:113], s[10:11], -v[136:137]
	v_fma_f64 v[154:155], v[112:113], s[26:27], v[176:177]
	v_add_f64 v[88:89], v[152:153], v[88:89]
	s_mov_b32 s19, 0x3fed1bb4
	v_fma_f64 v[152:153], v[110:111], s[26:27], -v[168:169]
	v_add_f64 v[132:133], v[199:200], v[182:183]
	v_add_f64 v[106:107], v[178:179], v[106:107]
	;; [unrolled: 1-line block ×5, first 2 shown]
	v_fma_f64 v[136:137], v[110:111], s[26:27], v[168:169]
	v_fma_f64 v[142:143], v[112:113], s[26:27], -v[176:177]
	v_mul_f64 v[168:169], v[174:175], s[28:29]
	v_mul_f64 v[176:177], v[164:165], s[28:29]
	;; [unrolled: 1-line block ×4, first 2 shown]
	v_add_f64 v[132:133], v[152:153], v[132:133]
	v_mul_f64 v[164:165], v[164:165], s[24:25]
	v_add_f64 v[136:137], v[136:137], v[158:159]
	v_add_f64 v[142:143], v[142:143], v[160:161]
	v_fma_f64 v[158:159], v[110:111], s[20:21], -v[168:169]
	v_fma_f64 v[160:161], v[112:113], s[20:21], v[176:177]
	v_fma_f64 v[152:153], v[110:111], s[8:9], -v[178:179]
	v_fma_f64 v[154:155], v[112:113], s[8:9], v[180:181]
	;; [unrolled: 2-line block ×3, first 2 shown]
	v_fma_f64 v[168:169], v[110:111], s[20:21], v[168:169]
	buffer_load_dword v0, off, s[52:55], 0 offset:8 ; 4-byte Folded Reload
	v_add_f64 v[158:159], v[158:159], v[162:163]
	v_add_f64 v[138:139], v[160:161], v[138:139]
	v_add_f64 v[160:161], v[116:117], -v[128:129]
	v_add_f64 v[162:163], v[114:115], -v[126:127]
	v_add_f64 v[152:153], v[152:153], v[170:171]
	v_add_f64 v[154:155], v[154:155], v[172:173]
	v_mul_f64 v[170:171], v[174:175], s[24:25]
	v_fma_f64 v[172:173], v[112:113], s[20:21], -v[176:177]
	v_fma_f64 v[176:177], v[112:113], s[22:23], v[164:165]
	v_add_f64 v[114:115], v[114:115], v[126:127]
	v_add_f64 v[116:117], v[116:117], v[128:129]
	v_mul_f64 v[126:127], v[160:161], s[24:25]
	v_mul_f64 v[128:129], v[162:163], s[24:25]
	v_fma_f64 v[112:113], v[112:113], s[22:23], -v[164:165]
	v_mul_f64 v[164:165], v[160:161], s[36:37]
	v_fma_f64 v[174:175], v[110:111], s[22:23], -v[170:171]
	v_add_f64 v[166:167], v[172:173], v[166:167]
	v_fma_f64 v[110:111], v[110:111], s[22:23], v[170:171]
	v_add_f64 v[150:151], v[150:151], v[195:196]
	v_fma_f64 v[170:171], v[114:115], s[22:23], -v[126:127]
	v_fma_f64 v[172:173], v[116:117], s[22:23], v[128:129]
	v_fma_f64 v[126:127], v[114:115], s[22:23], v[126:127]
	v_fma_f64 v[128:129], v[116:117], s[22:23], -v[128:129]
	v_add_f64 v[88:89], v[112:113], v[88:89]
	v_fma_f64 v[112:113], v[114:115], s[10:11], -v[164:165]
	v_add_f64 v[144:145], v[178:179], v[144:145]
	v_add_f64 v[146:147], v[180:181], v[146:147]
	;; [unrolled: 1-line block ×6, first 2 shown]
	v_mul_f64 v[128:129], v[160:161], s[28:29]
	v_mul_f64 v[130:131], v[162:163], s[28:29]
	v_add_f64 v[132:133], v[112:113], v[132:133]
	v_mul_f64 v[112:113], v[160:161], s[30:31]
	v_mul_f64 v[168:169], v[162:163], s[36:37]
	v_add_f64 v[104:105], v[170:171], v[104:105]
	v_add_f64 v[106:107], v[172:173], v[106:107]
	;; [unrolled: 1-line block ×3, first 2 shown]
	v_fma_f64 v[170:171], v[114:115], s[20:21], -v[128:129]
	v_fma_f64 v[172:173], v[116:117], s[20:21], v[130:131]
	v_fma_f64 v[128:129], v[114:115], s[20:21], v[128:129]
	v_fma_f64 v[130:131], v[116:117], s[20:21], -v[130:131]
	v_fma_f64 v[174:175], v[114:115], s[26:27], -v[112:113]
	v_fma_f64 v[150:151], v[116:117], s[10:11], v[168:169]
	v_fma_f64 v[164:165], v[114:115], s[10:11], v[164:165]
	v_fma_f64 v[168:169], v[116:117], s[10:11], -v[168:169]
	v_mul_f64 v[160:161], v[160:161], s[18:19]
	v_fma_f64 v[112:113], v[114:115], s[26:27], v[112:113]
	v_add_f64 v[128:129], v[128:129], v[144:145]
	v_add_f64 v[130:131], v[130:131], v[146:147]
	;; [unrolled: 1-line block ×3, first 2 shown]
	v_add_f64 v[146:147], v[120:121], -v[124:125]
	v_add_f64 v[158:159], v[118:119], -v[122:123]
	v_add_f64 v[134:135], v[150:151], v[134:135]
	v_mul_f64 v[150:151], v[162:163], s[30:31]
	v_add_f64 v[136:137], v[164:165], v[136:137]
	v_add_f64 v[142:143], v[168:169], v[142:143]
	v_mul_f64 v[162:163], v[162:163], s[18:19]
	v_add_f64 v[164:165], v[118:119], v[122:123]
	v_add_f64 v[168:169], v[120:121], v[124:125]
	v_mul_f64 v[118:119], v[146:147], s[30:31]
	v_mul_f64 v[120:121], v[158:159], s[30:31]
	v_fma_f64 v[122:123], v[114:115], s[8:9], -v[160:161]
	v_add_f64 v[156:157], v[176:177], v[156:157]
	v_fma_f64 v[176:177], v[116:117], s[26:27], v[150:151]
	v_fma_f64 v[150:151], v[116:117], s[26:27], -v[150:151]
	v_fma_f64 v[124:125], v[116:117], s[8:9], v[162:163]
	v_add_f64 v[140:141], v[112:113], v[140:141]
	v_fma_f64 v[112:113], v[114:115], s[8:9], v[160:161]
	v_fma_f64 v[114:115], v[116:117], s[8:9], -v[162:163]
	v_fma_f64 v[116:117], v[164:165], s[26:27], -v[118:119]
	v_fma_f64 v[160:161], v[168:169], s[26:27], v[120:121]
	v_add_f64 v[148:149], v[122:123], v[148:149]
	v_mul_f64 v[122:123], v[146:147], s[34:35]
	v_add_f64 v[156:157], v[124:125], v[156:157]
	v_mul_f64 v[124:125], v[158:159], s[34:35]
	v_add_f64 v[162:163], v[112:113], v[110:111]
	v_fma_f64 v[110:111], v[164:165], s[26:27], v[118:119]
	v_add_f64 v[104:105], v[116:117], v[104:105]
	v_add_f64 v[106:107], v[160:161], v[106:107]
	v_mul_f64 v[160:161], v[158:159], s[24:25]
	v_fma_f64 v[116:117], v[164:165], s[20:21], -v[122:123]
	v_add_f64 v[154:155], v[172:173], v[154:155]
	v_add_f64 v[88:89], v[114:115], v[88:89]
	v_fma_f64 v[114:115], v[168:169], s[26:27], -v[120:121]
	v_fma_f64 v[118:119], v[168:169], s[20:21], v[124:125]
	v_mul_f64 v[120:121], v[146:147], s[24:25]
	v_fma_f64 v[122:123], v[164:165], s[20:21], v[122:123]
	v_fma_f64 v[124:125], v[168:169], s[20:21], -v[124:125]
	v_add_f64 v[112:113], v[110:111], v[108:109]
	v_add_f64 v[108:109], v[116:117], v[132:133]
	v_fma_f64 v[132:133], v[168:169], s[22:23], v[160:161]
	v_add_f64 v[152:153], v[170:171], v[152:153]
	v_add_f64 v[114:115], v[114:115], v[126:127]
	;; [unrolled: 1-line block ×3, first 2 shown]
	v_fma_f64 v[126:127], v[164:165], s[22:23], -v[120:121]
	v_add_f64 v[116:117], v[122:123], v[136:137]
	v_add_f64 v[118:119], v[124:125], v[142:143]
	v_fma_f64 v[124:125], v[164:165], s[22:23], v[120:121]
	v_fma_f64 v[134:135], v[168:169], s[22:23], -v[160:161]
	v_mul_f64 v[136:137], v[146:147], s[18:19]
	v_mul_f64 v[142:143], v[158:159], s[18:19]
	v_add_f64 v[122:123], v[132:133], v[154:155]
	v_mul_f64 v[132:133], v[146:147], s[16:17]
	v_mul_f64 v[146:147], v[158:159], s[16:17]
	v_add_f64 v[138:139], v[176:177], v[138:139]
	v_add_f64 v[150:151], v[150:151], v[166:167]
	;; [unrolled: 1-line block ×5, first 2 shown]
	v_fma_f64 v[128:129], v[164:165], s[8:9], -v[136:137]
	v_fma_f64 v[130:131], v[168:169], s[8:9], v[142:143]
	v_fma_f64 v[134:135], v[164:165], s[8:9], v[136:137]
	v_fma_f64 v[142:143], v[168:169], s[8:9], -v[142:143]
	v_fma_f64 v[152:153], v[164:165], s[10:11], -v[132:133]
	v_fma_f64 v[154:155], v[168:169], s[10:11], v[146:147]
	v_fma_f64 v[158:159], v[164:165], s[10:11], v[132:133]
	v_fma_f64 v[146:147], v[168:169], s[10:11], -v[146:147]
	v_add_f64 v[128:129], v[128:129], v[144:145]
	v_add_f64 v[130:131], v[130:131], v[138:139]
	;; [unrolled: 1-line block ×8, first 2 shown]
	s_waitcnt vmcnt(0)
	v_lshl_add_u32 v90, v255, 4, v0
	ds_write_b128 v90, v[100:103]
	ds_write_b128 v90, v[104:107] offset:1456
	ds_write_b128 v90, v[108:111] offset:2912
	;; [unrolled: 1-line block ×10, first 2 shown]
	s_waitcnt lgkmcnt(0)
	s_barrier
	s_and_saveexec_b64 s[8:9], s[0:1]
	s_cbranch_execz .LBB0_13
; %bb.12:
	v_lshlrev_b32_e32 v0, 4, v255
	v_add_co_u32_e32 v88, vcc, s14, v0
	v_mov_b32_e32 v0, s15
	v_addc_co_u32_e32 v89, vcc, 0, v0, vcc
	v_add_co_u32_e32 v156, vcc, 0x3e90, v88
	v_addc_co_u32_e32 v157, vcc, 0, v89, vcc
	v_add_co_u32_e32 v148, vcc, 0x3000, v88
	v_addc_co_u32_e32 v149, vcc, 0, v89, vcc
	global_load_dwordx4 v[148:151], v[148:149], off offset:3728
	ds_read_b128 v[144:147], v90
	s_movk_i32 s10, 0x5000
	s_waitcnt vmcnt(0) lgkmcnt(0)
	v_mul_f64 v[152:153], v[146:147], v[150:151]
	v_fma_f64 v[152:153], v[144:145], v[148:149], -v[152:153]
	v_mul_f64 v[144:145], v[144:145], v[150:151]
	v_fma_f64 v[154:155], v[146:147], v[148:149], v[144:145]
	global_load_dwordx4 v[148:151], v[156:157], off offset:1232
	ds_read_b128 v[144:147], v90 offset:1232
	ds_write_b128 v90, v[152:155]
	s_waitcnt vmcnt(0) lgkmcnt(1)
	v_mul_f64 v[152:153], v[146:147], v[150:151]
	v_fma_f64 v[152:153], v[144:145], v[148:149], -v[152:153]
	v_mul_f64 v[144:145], v[144:145], v[150:151]
	v_fma_f64 v[154:155], v[146:147], v[148:149], v[144:145]
	global_load_dwordx4 v[148:151], v[156:157], off offset:2464
	ds_read_b128 v[144:147], v90 offset:2464
	ds_write_b128 v90, v[152:155] offset:1232
	s_waitcnt vmcnt(0) lgkmcnt(1)
	v_mul_f64 v[152:153], v[146:147], v[150:151]
	v_fma_f64 v[152:153], v[144:145], v[148:149], -v[152:153]
	v_mul_f64 v[144:145], v[144:145], v[150:151]
	v_fma_f64 v[154:155], v[146:147], v[148:149], v[144:145]
	global_load_dwordx4 v[148:151], v[156:157], off offset:3696
	ds_read_b128 v[144:147], v90 offset:3696
	v_add_co_u32_e32 v156, vcc, s10, v88
	v_addc_co_u32_e32 v157, vcc, 0, v89, vcc
	s_movk_i32 s10, 0x6000
	ds_write_b128 v90, v[152:155] offset:2464
	s_waitcnt vmcnt(0) lgkmcnt(1)
	v_mul_f64 v[152:153], v[146:147], v[150:151]
	v_fma_f64 v[152:153], v[144:145], v[148:149], -v[152:153]
	v_mul_f64 v[144:145], v[144:145], v[150:151]
	v_fma_f64 v[154:155], v[146:147], v[148:149], v[144:145]
	global_load_dwordx4 v[148:151], v[156:157], off offset:464
	ds_read_b128 v[144:147], v90 offset:4928
	ds_write_b128 v90, v[152:155] offset:3696
	s_waitcnt vmcnt(0) lgkmcnt(1)
	v_mul_f64 v[152:153], v[146:147], v[150:151]
	v_fma_f64 v[152:153], v[144:145], v[148:149], -v[152:153]
	v_mul_f64 v[144:145], v[144:145], v[150:151]
	v_fma_f64 v[154:155], v[146:147], v[148:149], v[144:145]
	global_load_dwordx4 v[148:151], v[156:157], off offset:1696
	ds_read_b128 v[144:147], v90 offset:6160
	;; [unrolled: 8-line block ×3, first 2 shown]
	v_add_co_u32_e32 v156, vcc, s10, v88
	v_addc_co_u32_e32 v157, vcc, 0, v89, vcc
	s_movk_i32 s10, 0x7000
	ds_write_b128 v90, v[152:155] offset:6160
	v_add_co_u32_e32 v88, vcc, s10, v88
	v_addc_co_u32_e32 v89, vcc, 0, v89, vcc
	s_waitcnt vmcnt(0) lgkmcnt(1)
	v_mul_f64 v[152:153], v[146:147], v[150:151]
	v_fma_f64 v[152:153], v[144:145], v[148:149], -v[152:153]
	v_mul_f64 v[144:145], v[144:145], v[150:151]
	v_fma_f64 v[154:155], v[146:147], v[148:149], v[144:145]
	global_load_dwordx4 v[148:151], v[156:157], off offset:64
	ds_read_b128 v[144:147], v90 offset:8624
	ds_write_b128 v90, v[152:155] offset:7392
	s_waitcnt vmcnt(0) lgkmcnt(1)
	v_mul_f64 v[152:153], v[146:147], v[150:151]
	v_fma_f64 v[152:153], v[144:145], v[148:149], -v[152:153]
	v_mul_f64 v[144:145], v[144:145], v[150:151]
	v_fma_f64 v[154:155], v[146:147], v[148:149], v[144:145]
	global_load_dwordx4 v[148:151], v[156:157], off offset:1296
	ds_read_b128 v[144:147], v90 offset:9856
	ds_write_b128 v90, v[152:155] offset:8624
	;; [unrolled: 8-line block ×6, first 2 shown]
	s_waitcnt vmcnt(0) lgkmcnt(1)
	v_mul_f64 v[88:89], v[146:147], v[150:151]
	v_fma_f64 v[152:153], v[144:145], v[148:149], -v[88:89]
	v_mul_f64 v[88:89], v[144:145], v[150:151]
	v_fma_f64 v[154:155], v[146:147], v[148:149], v[88:89]
	ds_write_b128 v90, v[152:155] offset:14784
.LBB0_13:
	s_or_b64 exec, exec, s[8:9]
	s_waitcnt lgkmcnt(0)
	s_barrier
	s_and_saveexec_b64 s[8:9], s[0:1]
	s_cbranch_execz .LBB0_15
; %bb.14:
	ds_read_b128 v[100:103], v90
	ds_read_b128 v[104:107], v90 offset:1232
	ds_read_b128 v[108:111], v90 offset:2464
	;; [unrolled: 1-line block ×12, first 2 shown]
.LBB0_15:
	s_or_b64 exec, exec, s[8:9]
	s_waitcnt lgkmcnt(0)
	v_add_f64 v[88:89], v[106:107], v[98:99]
	s_mov_b32 s20, 0xd0032e0c
	s_mov_b32 s21, 0xbfe7f3cc
	v_add_f64 v[185:186], v[104:105], -v[96:97]
	v_add_f64 v[144:145], v[106:107], -v[98:99]
	s_mov_b32 s22, 0x24c2f84
	s_mov_b32 s24, 0x4bc48dbf
	;; [unrolled: 1-line block ×3, first 2 shown]
	v_mul_f64 v[4:5], v[88:89], s[20:21]
	s_mov_b32 s25, 0xbfcea1e5
	s_mov_b32 s26, 0x93053d00
	;; [unrolled: 1-line block ×3, first 2 shown]
	v_mul_f64 v[10:11], v[88:89], s[26:27]
	v_add_f64 v[189:190], v[104:105], v[96:97]
	v_add_f64 v[166:167], v[110:111], v[94:95]
	s_mov_b32 s8, 0xe00740e9
	buffer_store_dword v4, off, s[52:55], 0 offset:156 ; 4-byte Folded Spill
	s_nop 0
	buffer_store_dword v5, off, s[52:55], 0 offset:160 ; 4-byte Folded Spill
	s_mov_b32 s10, 0x1ea71119
	s_mov_b32 s18, 0xebaa3ed8
	;; [unrolled: 1-line block ×7, first 2 shown]
	v_mul_f64 v[2:3], v[88:89], s[8:9]
	v_mul_f64 v[8:9], v[88:89], s[10:11]
	;; [unrolled: 1-line block ×4, first 2 shown]
	s_mov_b32 s36, 0x4267c47c
	s_mov_b32 s37, 0xbfddbe06
	v_mul_f64 v[0:1], v[144:145], s[36:37]
	v_add_f64 v[168:169], v[110:111], -v[94:95]
	s_mov_b32 s16, 0x42a4c3d2
	s_mov_b32 s30, 0x66966769
	;; [unrolled: 1-line block ×6, first 2 shown]
	v_fma_f64 v[146:147], v[189:190], s[8:9], -v[0:1]
	v_mul_f64 v[16:17], v[144:145], s[16:17]
	v_mul_f64 v[6:7], v[144:145], s[30:31]
	;; [unrolled: 1-line block ×4, first 2 shown]
	v_add_f64 v[199:200], v[108:109], v[92:93]
	v_fma_f64 v[148:149], v[185:186], s[36:37], v[2:3]
	v_add_f64 v[201:202], v[108:109], -v[92:93]
	v_add_f64 v[146:147], v[100:101], v[146:147]
	v_mul_f64 v[12:13], v[166:167], s[10:11]
	v_fma_f64 v[150:151], v[189:190], s[10:11], -v[16:17]
	v_mul_f64 v[14:15], v[168:169], s[28:29]
	v_fma_f64 v[152:153], v[185:186], s[16:17], v[8:9]
	v_mul_f64 v[18:19], v[166:167], s[34:35]
	v_add_f64 v[148:149], v[102:103], v[148:149]
	v_fma_f64 v[154:155], v[189:190], s[18:19], -v[6:7]
	v_mul_f64 v[22:23], v[168:169], s[24:25]
	v_fma_f64 v[156:157], v[185:186], s[30:31], v[20:21]
	v_add_f64 v[150:151], v[100:101], v[150:151]
	v_mul_f64 v[229:230], v[166:167], s[26:27]
	v_add_f64 v[152:153], v[102:103], v[152:153]
	s_mov_b32 s41, 0x3fe5384d
	s_mov_b32 s40, s22
	v_add_f64 v[154:155], v[100:101], v[154:155]
	v_fma_f64 v[158:159], v[189:190], s[34:35], -v[187:188]
	v_add_f64 v[156:157], v[102:103], v[156:157]
	v_mul_f64 v[48:49], v[168:169], s[40:41]
	s_mov_b32 s39, 0x3fefc445
	s_mov_b32 s38, s30
	v_mul_f64 v[50:51], v[166:167], s[18:19]
	v_fma_f64 v[160:161], v[185:186], s[28:29], v[209:210]
	v_fma_f64 v[162:163], v[189:190], s[20:21], -v[217:218]
	v_add_f64 v[158:159], v[100:101], v[158:159]
	s_mov_b32 s43, 0x3fddbe06
	s_mov_b32 s42, s36
	v_add_f64 v[225:226], v[120:121], v[112:113]
	v_add_f64 v[227:228], v[120:121], -v[112:113]
	s_mov_b32 s45, 0x3fedeba7
	v_add_f64 v[160:161], v[102:103], v[160:161]
	v_add_f64 v[162:163], v[100:101], v[162:163]
	s_mov_b32 s44, s28
	v_add_f64 v[251:252], v[128:129], v[116:117]
	v_add_f64 v[253:254], v[128:129], -v[116:117]
	s_mov_b32 s49, 0x3fea55e2
	s_mov_b32 s48, s16
	;; [unrolled: 1-line block ×4, first 2 shown]
	v_add_f64 v[203:204], v[132:133], v[124:125]
	v_add_f64 v[197:198], v[132:133], -v[124:125]
	v_add_f64 v[182:183], v[142:143], -v[138:139]
	v_add_f64 v[231:232], v[140:141], v[136:137]
	v_add_f64 v[233:234], v[140:141], -v[136:137]
	v_mul_f64 v[247:248], v[182:183], s[48:49]
	v_fma_f64 v[164:165], v[185:186], s[22:23], v[4:5]
	v_mul_f64 v[4:5], v[144:145], s[24:25]
	buffer_store_dword v4, off, s[52:55], 0 offset:172 ; 4-byte Folded Spill
	s_nop 0
	buffer_store_dword v5, off, s[52:55], 0 offset:176 ; 4-byte Folded Spill
	buffer_store_dword v10, off, s[52:55], 0 offset:204 ; 4-byte Folded Spill
	s_nop 0
	buffer_store_dword v11, off, s[52:55], 0 offset:208 ; 4-byte Folded Spill
	v_add_f64 v[164:165], v[102:103], v[164:165]
	v_fma_f64 v[88:89], v[189:190], s[26:27], -v[4:5]
	v_mul_f64 v[4:5], v[166:167], s[20:21]
	v_fma_f64 v[144:145], v[185:186], s[24:25], v[10:11]
	v_mul_f64 v[10:11], v[168:169], s[16:17]
	buffer_store_dword v4, off, s[52:55], 0 offset:164 ; 4-byte Folded Spill
	s_nop 0
	buffer_store_dword v5, off, s[52:55], 0 offset:168 ; 4-byte Folded Spill
	v_add_f64 v[88:89], v[100:101], v[88:89]
	v_fma_f64 v[170:171], v[199:200], s[10:11], -v[10:11]
	v_add_f64 v[144:145], v[102:103], v[144:145]
	v_add_f64 v[146:147], v[170:171], v[146:147]
	v_fma_f64 v[170:171], v[201:202], s[16:17], v[12:13]
	v_add_f64 v[148:149], v[170:171], v[148:149]
	v_fma_f64 v[170:171], v[199:200], s[34:35], -v[14:15]
	v_add_f64 v[150:151], v[170:171], v[150:151]
	v_fma_f64 v[170:171], v[201:202], s[28:29], v[18:19]
	v_add_f64 v[152:153], v[170:171], v[152:153]
	v_fma_f64 v[170:171], v[199:200], s[26:27], -v[22:23]
	;; [unrolled: 4-line block ×3, first 2 shown]
	v_add_f64 v[158:159], v[170:171], v[158:159]
	v_fma_f64 v[170:171], v[201:202], s[40:41], v[4:5]
	v_mul_f64 v[4:5], v[168:169], s[38:39]
	buffer_store_dword v4, off, s[52:55], 0 offset:196 ; 4-byte Folded Spill
	s_nop 0
	buffer_store_dword v5, off, s[52:55], 0 offset:200 ; 4-byte Folded Spill
	buffer_store_dword v50, off, s[52:55], 0 offset:252 ; 4-byte Folded Spill
	s_nop 0
	buffer_store_dword v51, off, s[52:55], 0 offset:256 ; 4-byte Folded Spill
	v_add_f64 v[160:161], v[170:171], v[160:161]
	v_fma_f64 v[170:171], v[199:200], s[18:19], -v[4:5]
	v_mul_f64 v[4:5], v[168:169], s[42:43]
	v_add_f64 v[168:169], v[122:123], -v[114:115]
	buffer_store_dword v4, off, s[52:55], 0 offset:268 ; 4-byte Folded Spill
	s_nop 0
	buffer_store_dword v5, off, s[52:55], 0 offset:272 ; 4-byte Folded Spill
	v_add_f64 v[162:163], v[170:171], v[162:163]
	v_fma_f64 v[170:171], v[201:202], s[38:39], v[50:51]
	v_mul_f64 v[50:51], v[166:167], s[8:9]
	buffer_store_dword v50, off, s[52:55], 0 offset:308 ; 4-byte Folded Spill
	s_nop 0
	buffer_store_dword v51, off, s[52:55], 0 offset:312 ; 4-byte Folded Spill
	v_mul_f64 v[195:196], v[168:169], s[30:31]
	v_add_f64 v[164:165], v[170:171], v[164:165]
	v_mul_f64 v[219:220], v[168:169], s[24:25]
	v_mul_f64 v[207:208], v[168:169], s[22:23]
	v_fma_f64 v[170:171], v[225:226], s[18:19], -v[195:196]
	v_add_f64 v[146:147], v[170:171], v[146:147]
	v_fma_f64 v[166:167], v[199:200], s[8:9], -v[4:5]
	v_add_f64 v[88:89], v[166:167], v[88:89]
	v_fma_f64 v[166:167], v[201:202], s[42:43], v[50:51]
	v_mul_f64 v[50:51], v[168:169], s[44:45]
	v_add_f64 v[144:145], v[166:167], v[144:145]
	v_add_f64 v[166:167], v[122:123], v[114:115]
	v_mul_f64 v[4:5], v[166:167], s[34:35]
	buffer_store_dword v4, off, s[52:55], 0 offset:148 ; 4-byte Folded Spill
	s_nop 0
	buffer_store_dword v5, off, s[52:55], 0 offset:152 ; 4-byte Folded Spill
	v_mul_f64 v[213:214], v[166:167], s[18:19]
	v_mul_f64 v[235:236], v[166:167], s[26:27]
	;; [unrolled: 1-line block ×5, first 2 shown]
	v_fma_f64 v[166:167], v[225:226], s[20:21], -v[207:208]
	v_fma_f64 v[170:171], v[227:228], s[30:31], v[213:214]
	v_add_f64 v[88:89], v[166:167], v[88:89]
	v_fma_f64 v[166:167], v[227:228], s[22:23], v[211:212]
	v_add_f64 v[148:149], v[170:171], v[148:149]
	v_fma_f64 v[170:171], v[225:226], s[26:27], -v[219:220]
	v_add_f64 v[144:145], v[166:167], v[144:145]
	v_add_f64 v[166:167], v[130:131], v[118:119]
	v_add_f64 v[150:151], v[170:171], v[150:151]
	v_fma_f64 v[170:171], v[227:228], s[24:25], v[235:236]
	v_mul_f64 v[205:206], v[166:167], s[18:19]
	v_mul_f64 v[223:224], v[166:167], s[26:27]
	;; [unrolled: 1-line block ×3, first 2 shown]
	v_add_f64 v[152:153], v[170:171], v[152:153]
	v_fma_f64 v[170:171], v[225:226], s[34:35], -v[50:51]
	v_add_f64 v[154:155], v[170:171], v[154:155]
	v_fma_f64 v[170:171], v[227:228], s[44:45], v[4:5]
	v_mul_f64 v[4:5], v[168:169], s[42:43]
	buffer_store_dword v4, off, s[52:55], 0 offset:236 ; 4-byte Folded Spill
	s_nop 0
	buffer_store_dword v5, off, s[52:55], 0 offset:240 ; 4-byte Folded Spill
	v_add_f64 v[156:157], v[170:171], v[156:157]
	buffer_store_dword v172, off, s[52:55], 0 offset:260 ; 4-byte Folded Spill
	s_nop 0
	buffer_store_dword v173, off, s[52:55], 0 offset:264 ; 4-byte Folded Spill
	v_fma_f64 v[170:171], v[225:226], s[8:9], -v[4:5]
	v_mul_f64 v[4:5], v[168:169], s[16:17]
	buffer_store_dword v4, off, s[52:55], 0 offset:292 ; 4-byte Folded Spill
	s_nop 0
	buffer_store_dword v5, off, s[52:55], 0 offset:296 ; 4-byte Folded Spill
	v_add_f64 v[158:159], v[170:171], v[158:159]
	v_fma_f64 v[170:171], v[227:228], s[42:43], v[172:173]
	v_add_f64 v[168:169], v[130:131], -v[118:119]
	v_mul_f64 v[172:173], v[166:167], s[34:35]
	v_add_f64 v[160:161], v[170:171], v[160:161]
	v_mul_f64 v[239:240], v[168:169], s[48:49]
	v_mul_f64 v[191:192], v[168:169], s[30:31]
	;; [unrolled: 1-line block ×3, first 2 shown]
	v_fma_f64 v[170:171], v[225:226], s[10:11], -v[4:5]
	v_mul_f64 v[4:5], v[168:169], s[28:29]
	buffer_store_dword v4, off, s[52:55], 0 offset:180 ; 4-byte Folded Spill
	s_nop 0
	buffer_store_dword v5, off, s[52:55], 0 offset:184 ; 4-byte Folded Spill
	buffer_store_dword v172, off, s[52:55], 0 offset:188 ; 4-byte Folded Spill
	s_nop 0
	buffer_store_dword v173, off, s[52:55], 0 offset:192 ; 4-byte Folded Spill
	v_add_f64 v[162:163], v[170:171], v[162:163]
	v_fma_f64 v[170:171], v[227:228], s[16:17], v[193:194]
	v_add_f64 v[164:165], v[170:171], v[164:165]
	v_fma_f64 v[170:171], v[251:252], s[34:35], -v[4:5]
	v_mul_f64 v[4:5], v[168:169], s[40:41]
	buffer_store_dword v4, off, s[52:55], 0 offset:212 ; 4-byte Folded Spill
	s_nop 0
	buffer_store_dword v5, off, s[52:55], 0 offset:216 ; 4-byte Folded Spill
	v_add_f64 v[146:147], v[170:171], v[146:147]
	v_fma_f64 v[170:171], v[253:254], s[28:29], v[172:173]
	v_mul_f64 v[172:173], v[166:167], s[20:21]
	buffer_store_dword v172, off, s[52:55], 0 offset:220 ; 4-byte Folded Spill
	s_nop 0
	buffer_store_dword v173, off, s[52:55], 0 offset:224 ; 4-byte Folded Spill
	v_add_f64 v[148:149], v[170:171], v[148:149]
	v_fma_f64 v[170:171], v[251:252], s[20:21], -v[4:5]
	v_mul_f64 v[4:5], v[168:169], s[42:43]
	buffer_store_dword v4, off, s[52:55], 0 offset:228 ; 4-byte Folded Spill
	s_nop 0
	buffer_store_dword v5, off, s[52:55], 0 offset:232 ; 4-byte Folded Spill
	v_add_f64 v[150:151], v[170:171], v[150:151]
	v_fma_f64 v[170:171], v[253:254], s[40:41], v[172:173]
	v_mul_f64 v[172:173], v[166:167], s[8:9]
	buffer_store_dword v172, off, s[52:55], 0 offset:244 ; 4-byte Folded Spill
	s_nop 0
	buffer_store_dword v173, off, s[52:55], 0 offset:248 ; 4-byte Folded Spill
	v_fma_f64 v[166:167], v[251:252], s[10:11], -v[239:240]
	v_add_f64 v[168:169], v[134:135], -v[126:127]
	v_add_f64 v[152:153], v[170:171], v[152:153]
	v_add_f64 v[88:89], v[166:167], v[88:89]
	v_fma_f64 v[166:167], v[253:254], s[48:49], v[245:246]
	v_mul_f64 v[221:222], v[168:169], s[46:47]
	v_mul_f64 v[241:242], v[168:169], s[42:43]
	v_add_f64 v[144:145], v[166:167], v[144:145]
	v_add_f64 v[166:167], v[134:135], v[126:127]
	v_mul_f64 v[237:238], v[166:167], s[26:27]
	v_mul_f64 v[243:244], v[166:167], s[8:9]
	;; [unrolled: 1-line block ×3, first 2 shown]
	v_fma_f64 v[170:171], v[251:252], s[8:9], -v[4:5]
	v_mul_f64 v[4:5], v[168:169], s[22:23]
	buffer_store_dword v4, off, s[52:55], 0 offset:276 ; 4-byte Folded Spill
	s_nop 0
	buffer_store_dword v5, off, s[52:55], 0 offset:280 ; 4-byte Folded Spill
	v_add_f64 v[154:155], v[170:171], v[154:155]
	v_fma_f64 v[170:171], v[253:254], s[42:43], v[172:173]
	v_mul_f64 v[172:173], v[166:167], s[20:21]
	buffer_store_dword v172, off, s[52:55], 0 offset:284 ; 4-byte Folded Spill
	s_nop 0
	buffer_store_dword v173, off, s[52:55], 0 offset:288 ; 4-byte Folded Spill
	v_add_f64 v[156:157], v[170:171], v[156:157]
	v_fma_f64 v[170:171], v[251:252], s[18:19], -v[191:192]
	v_add_f64 v[158:159], v[170:171], v[158:159]
	v_fma_f64 v[170:171], v[253:254], s[30:31], v[205:206]
	v_add_f64 v[160:161], v[170:171], v[160:161]
	v_fma_f64 v[170:171], v[251:252], s[26:27], -v[215:216]
	v_add_f64 v[162:163], v[170:171], v[162:163]
	v_fma_f64 v[170:171], v[253:254], s[46:47], v[223:224]
	v_add_f64 v[164:165], v[170:171], v[164:165]
	v_fma_f64 v[170:171], v[203:204], s[20:21], -v[4:5]
	v_mul_f64 v[4:5], v[168:169], s[38:39]
	buffer_store_dword v4, off, s[52:55], 0 offset:300 ; 4-byte Folded Spill
	s_nop 0
	buffer_store_dword v5, off, s[52:55], 0 offset:304 ; 4-byte Folded Spill
	v_add_f64 v[146:147], v[170:171], v[146:147]
	v_fma_f64 v[170:171], v[197:198], s[22:23], v[172:173]
	v_mul_f64 v[172:173], v[166:167], s[18:19]
	buffer_store_dword v172, off, s[52:55], 0 offset:316 ; 4-byte Folded Spill
	s_nop 0
	buffer_store_dword v173, off, s[52:55], 0 offset:320 ; 4-byte Folded Spill
	v_add_f64 v[148:149], v[170:171], v[148:149]
	v_fma_f64 v[170:171], v[203:204], s[18:19], -v[4:5]
	v_mul_f64 v[4:5], v[168:169], s[16:17]
	buffer_store_dword v4, off, s[52:55], 0 offset:324 ; 4-byte Folded Spill
	s_nop 0
	buffer_store_dword v5, off, s[52:55], 0 offset:328 ; 4-byte Folded Spill
	v_add_f64 v[150:151], v[170:171], v[150:151]
	v_fma_f64 v[170:171], v[197:198], s[38:39], v[172:173]
	v_mul_f64 v[172:173], v[166:167], s[10:11]
	buffer_store_dword v172, off, s[52:55], 0 offset:332 ; 4-byte Folded Spill
	s_nop 0
	buffer_store_dword v173, off, s[52:55], 0 offset:336 ; 4-byte Folded Spill
	v_add_f64 v[152:153], v[170:171], v[152:153]
	v_mul_f64 v[168:169], v[168:169], s[28:29]
	v_fma_f64 v[170:171], v[203:204], s[10:11], -v[4:5]
	v_mul_f64 v[4:5], v[182:183], s[24:25]
	buffer_store_dword v4, off, s[52:55], 0 offset:340 ; 4-byte Folded Spill
	s_nop 0
	buffer_store_dword v5, off, s[52:55], 0 offset:344 ; 4-byte Folded Spill
	v_add_f64 v[154:155], v[170:171], v[154:155]
	v_fma_f64 v[170:171], v[197:198], s[16:17], v[172:173]
	v_add_f64 v[156:157], v[170:171], v[156:157]
	v_fma_f64 v[170:171], v[203:204], s[26:27], -v[221:222]
	v_add_f64 v[158:159], v[170:171], v[158:159]
	v_fma_f64 v[170:171], v[197:198], s[46:47], v[237:238]
	v_add_f64 v[160:161], v[170:171], v[160:161]
	v_fma_f64 v[170:171], v[203:204], s[8:9], -v[241:242]
	v_add_f64 v[162:163], v[170:171], v[162:163]
	v_fma_f64 v[170:171], v[197:198], s[42:43], v[243:244]
	v_add_f64 v[176:177], v[170:171], v[164:165]
	v_fma_f64 v[164:165], v[203:204], s[34:35], -v[168:169]
	v_mul_f64 v[170:171], v[182:183], s[28:29]
	v_add_f64 v[178:179], v[164:165], v[88:89]
	v_fma_f64 v[88:89], v[197:198], s[28:29], v[174:175]
	v_add_f64 v[180:181], v[88:89], v[144:145]
	v_add_f64 v[88:89], v[142:143], v[138:139]
	v_mul_f64 v[164:165], v[88:89], s[26:27]
	buffer_store_dword v164, off, s[52:55], 0 offset:348 ; 4-byte Folded Spill
	s_nop 0
	buffer_store_dword v165, off, s[52:55], 0 offset:352 ; 4-byte Folded Spill
	v_fma_f64 v[144:145], v[231:232], s[26:27], -v[4:5]
	v_mul_f64 v[4:5], v[182:183], s[42:43]
	buffer_store_dword v4, off, s[52:55], 0 offset:356 ; 4-byte Folded Spill
	s_nop 0
	buffer_store_dword v5, off, s[52:55], 0 offset:360 ; 4-byte Folded Spill
	v_add_f64 v[144:145], v[144:145], v[146:147]
	v_mul_f64 v[249:250], v[88:89], s[10:11]
	v_mul_f64 v[172:173], v[88:89], s[34:35]
	v_fma_f64 v[146:147], v[233:234], s[24:25], v[164:165]
	v_mul_f64 v[164:165], v[88:89], s[8:9]
	buffer_store_dword v164, off, s[52:55], 0 offset:364 ; 4-byte Folded Spill
	s_nop 0
	buffer_store_dword v165, off, s[52:55], 0 offset:368 ; 4-byte Folded Spill
	v_add_f64 v[146:147], v[146:147], v[148:149]
	v_fma_f64 v[148:149], v[231:232], s[8:9], -v[4:5]
	v_mul_f64 v[4:5], v[88:89], s[20:21]
	v_mul_f64 v[88:89], v[88:89], s[18:19]
	v_add_f64 v[148:149], v[148:149], v[150:151]
	v_fma_f64 v[150:151], v[233:234], s[42:43], v[164:165]
	v_add_f64 v[150:151], v[150:151], v[152:153]
	v_mul_f64 v[152:153], v[182:183], s[22:23]
	buffer_store_dword v152, off, s[52:55], 0 offset:372 ; 4-byte Folded Spill
	s_nop 0
	buffer_store_dword v153, off, s[52:55], 0 offset:376 ; 4-byte Folded Spill
	s_waitcnt vmcnt(0)
	s_barrier
	v_fma_f64 v[152:153], v[231:232], s[20:21], -v[152:153]
	v_add_f64 v[152:153], v[152:153], v[154:155]
	v_fma_f64 v[154:155], v[233:234], s[22:23], v[4:5]
	v_add_f64 v[154:155], v[154:155], v[156:157]
	v_fma_f64 v[156:157], v[231:232], s[10:11], -v[247:248]
	v_add_f64 v[164:165], v[156:157], v[158:159]
	v_fma_f64 v[156:157], v[233:234], s[48:49], v[249:250]
	v_fma_f64 v[158:159], v[233:234], s[38:39], v[88:89]
	v_add_f64 v[166:167], v[156:157], v[160:161]
	v_fma_f64 v[156:157], v[231:232], s[34:35], -v[170:171]
	v_add_f64 v[158:159], v[158:159], v[180:181]
	v_add_f64 v[160:161], v[156:157], v[162:163]
	v_fma_f64 v[156:157], v[233:234], s[28:29], v[172:173]
	v_add_f64 v[162:163], v[156:157], v[176:177]
	v_mul_f64 v[176:177], v[182:183], s[38:39]
	v_fma_f64 v[156:157], v[231:232], s[18:19], -v[176:177]
	v_add_f64 v[156:157], v[156:157], v[178:179]
	s_and_saveexec_b64 s[50:51], s[0:1]
	s_cbranch_execz .LBB0_17
; %bb.16:
	v_mul_f64 v[178:179], v[233:234], s[38:39]
	v_mul_f64 v[180:181], v[185:186], s[24:25]
	;; [unrolled: 1-line block ×3, first 2 shown]
	v_add_f64 v[104:105], v[100:101], v[104:105]
	v_add_f64 v[88:89], v[88:89], -v[178:179]
	v_mul_f64 v[178:179], v[197:198], s[28:29]
	buffer_store_dword v88, off, s[52:55], 0 offset:380 ; 4-byte Folded Spill
	s_nop 0
	buffer_store_dword v89, off, s[52:55], 0 offset:384 ; 4-byte Folded Spill
	buffer_load_dword v88, off, s[52:55], 0 offset:204 ; 4-byte Folded Reload
	s_nop 0
	buffer_load_dword v89, off, s[52:55], 0 offset:208 ; 4-byte Folded Reload
	v_add_f64 v[174:175], v[174:175], -v[178:179]
	v_mul_f64 v[178:179], v[253:254], s[48:49]
	v_add_f64 v[104:105], v[104:105], v[108:109]
	v_add_f64 v[178:179], v[245:246], -v[178:179]
	v_mul_f64 v[245:246], v[189:190], s[26:27]
	s_waitcnt vmcnt(0)
	v_add_f64 v[180:181], v[88:89], -v[180:181]
	buffer_load_dword v88, off, s[52:55], 0 offset:308 ; 4-byte Folded Reload
	buffer_load_dword v89, off, s[52:55], 0 offset:312 ; 4-byte Folded Reload
	v_add_f64 v[180:181], v[102:103], v[180:181]
	s_waitcnt vmcnt(0)
	v_add_f64 v[182:183], v[88:89], -v[182:183]
	buffer_load_dword v88, off, s[52:55], 0 offset:172 ; 4-byte Folded Reload
	buffer_load_dword v89, off, s[52:55], 0 offset:176 ; 4-byte Folded Reload
	s_nop 0
	buffer_store_dword v50, off, s[52:55], 0 offset:308 ; 4-byte Folded Spill
	s_nop 0
	buffer_store_dword v51, off, s[52:55], 0 offset:312 ; 4-byte Folded Spill
	v_mov_b32_e32 v50, v229
	v_mov_b32_e32 v51, v230
	;; [unrolled: 1-line block ×4, first 2 shown]
	buffer_load_dword v20, off, s[52:55], 0 offset:268 ; 4-byte Folded Reload
	buffer_load_dword v21, off, s[52:55], 0 offset:272 ; 4-byte Folded Reload
	s_nop 0
	buffer_store_dword v0, off, s[52:55], 0 offset:172 ; 4-byte Folded Spill
	s_nop 0
	buffer_store_dword v1, off, s[52:55], 0 offset:176 ; 4-byte Folded Spill
	v_mul_f64 v[0:1], v[225:226], s[20:21]
	buffer_store_dword v2, off, s[52:55], 0 offset:204 ; 4-byte Folded Spill
	s_nop 0
	buffer_store_dword v3, off, s[52:55], 0 offset:208 ; 4-byte Folded Spill
	v_add_f64 v[180:181], v[182:183], v[180:181]
	v_mul_f64 v[182:183], v[251:252], s[10:11]
	v_mul_f64 v[2:3], v[185:186], s[22:23]
	v_add_f64 v[0:1], v[0:1], v[207:208]
	buffer_load_dword v207, off, s[52:55], 0 offset:156 ; 4-byte Folded Reload
	buffer_load_dword v208, off, s[52:55], 0 offset:160 ; 4-byte Folded Reload
	v_add_f64 v[182:183], v[182:183], v[239:240]
	buffer_load_dword v239, off, s[52:55], 0 offset:252 ; 4-byte Folded Reload
	buffer_load_dword v240, off, s[52:55], 0 offset:256 ; 4-byte Folded Reload
	s_waitcnt vmcnt(12)
	v_add_f64 v[245:246], v[245:246], v[88:89]
	v_mul_f64 v[88:89], v[227:228], s[22:23]
	v_add_f64 v[88:89], v[211:212], -v[88:89]
	v_mul_f64 v[211:212], v[203:204], s[34:35]
	s_waitcnt vmcnt(2)
	v_add_f64 v[2:3], v[207:208], -v[2:3]
	v_add_f64 v[168:169], v[211:212], v[168:169]
	v_mul_f64 v[211:212], v[199:200], s[8:9]
	v_mul_f64 v[207:208], v[201:202], s[38:39]
	v_add_f64 v[88:89], v[88:89], v[180:181]
	v_mul_f64 v[180:181], v[231:232], s[18:19]
	v_add_f64 v[2:3], v[102:103], v[2:3]
	v_add_f64 v[211:212], v[211:212], v[20:21]
	s_waitcnt vmcnt(0)
	v_add_f64 v[207:208], v[239:240], -v[207:208]
	v_add_f64 v[239:240], v[100:101], v[245:246]
	v_add_f64 v[20:21], v[180:181], v[176:177]
	buffer_store_dword v20, off, s[52:55], 0 offset:156 ; 4-byte Folded Spill
	s_nop 0
	buffer_store_dword v21, off, s[52:55], 0 offset:160 ; 4-byte Folded Spill
	v_add_f64 v[211:212], v[211:212], v[239:240]
	v_mul_f64 v[20:21], v[189:190], s[8:9]
	buffer_store_dword v20, off, s[52:55], 0 offset:252 ; 4-byte Folded Spill
	s_nop 0
	buffer_store_dword v21, off, s[52:55], 0 offset:256 ; 4-byte Folded Spill
	v_add_f64 v[0:1], v[0:1], v[211:212]
	v_mul_f64 v[20:21], v[185:186], s[36:37]
	;; [unrolled: 5-line block ×3, first 2 shown]
	buffer_store_dword v20, off, s[52:55], 0 offset:388 ; 4-byte Folded Spill
	s_nop 0
	buffer_store_dword v21, off, s[52:55], 0 offset:392 ; 4-byte Folded Spill
	v_add_f64 v[0:1], v[168:169], v[0:1]
	buffer_store_dword v0, off, s[52:55], 0 offset:268 ; 4-byte Folded Spill
	s_nop 0
	buffer_store_dword v1, off, s[52:55], 0 offset:272 ; 4-byte Folded Spill
	buffer_store_dword v195, off, s[52:55], 0 offset:404 ; 4-byte Folded Spill
	s_nop 0
	buffer_store_dword v196, off, s[52:55], 0 offset:408 ; 4-byte Folded Spill
	buffer_load_dword v0, off, s[52:55], 0 offset:196 ; 4-byte Folded Reload
	buffer_load_dword v1, off, s[52:55], 0 offset:200 ; 4-byte Folded Reload
	v_mul_f64 v[239:240], v[227:228], s[16:17]
	v_add_f64 v[2:3], v[207:208], v[2:3]
	v_mov_b32_e32 v196, v7
	v_mov_b32_e32 v195, v6
	v_mul_f64 v[6:7], v[225:226], s[10:11]
	v_mul_f64 v[182:183], v[197:198], s[42:43]
	v_add_f64 v[88:89], v[178:179], v[88:89]
	v_mul_f64 v[207:208], v[185:186], s[16:17]
	v_add_f64 v[193:194], v[193:194], -v[239:240]
	v_mul_f64 v[239:240], v[253:254], s[46:47]
	v_mul_f64 v[245:246], v[199:200], s[10:11]
	;; [unrolled: 1-line block ×3, first 2 shown]
	v_mov_b32_e32 v176, v213
	v_add_f64 v[182:183], v[243:244], -v[182:183]
	v_mul_f64 v[243:244], v[233:234], s[28:29]
	v_add_f64 v[88:89], v[174:175], v[88:89]
	v_add_f64 v[2:3], v[193:194], v[2:3]
	v_add_f64 v[180:181], v[223:224], -v[239:240]
	v_mul_f64 v[223:224], v[189:190], s[20:21]
	v_mul_f64 v[174:175], v[185:186], s[30:31]
	;; [unrolled: 1-line block ×4, first 2 shown]
	v_add_f64 v[172:173], v[172:173], -v[243:244]
	v_mul_f64 v[243:244], v[201:202], s[40:41]
	v_mul_f64 v[189:190], v[189:190], s[34:35]
	v_add_f64 v[2:3], v[180:181], v[2:3]
	v_add_f64 v[193:194], v[223:224], v[217:218]
	v_mul_f64 v[223:224], v[199:200], s[18:19]
	v_mov_b32_e32 v177, v214
	v_mov_b32_e32 v214, v11
	;; [unrolled: 1-line block ×4, first 2 shown]
	v_add_f64 v[189:190], v[189:190], v[187:188]
	v_add_f64 v[2:3], v[182:183], v[2:3]
	;; [unrolled: 1-line block ×3, first 2 shown]
	v_mul_f64 v[182:183], v[251:252], s[26:27]
	v_mul_f64 v[193:194], v[201:202], s[16:17]
	v_mul_f64 v[10:11], v[201:202], s[24:25]
	v_mov_b32_e32 v217, v12
	v_mul_f64 v[12:13], v[197:198], s[46:47]
	v_add_f64 v[189:190], v[100:101], v[189:190]
	v_mov_b32_e32 v212, v17
	v_mov_b32_e32 v211, v16
	v_add_f64 v[182:183], v[182:183], v[215:216]
	v_mul_f64 v[215:216], v[199:200], s[26:27]
	v_mul_f64 v[199:200], v[199:200], s[20:21]
	v_add_f64 v[10:11], v[50:51], -v[10:11]
	v_add_f64 v[12:13], v[237:238], -v[12:13]
	v_mul_f64 v[237:238], v[233:234], s[48:49]
	v_mul_f64 v[16:17], v[253:254], s[40:41]
	v_mul_f64 v[20:21], v[233:234], s[24:25]
	v_mul_f64 v[187:188], v[233:234], s[42:43]
	v_mul_f64 v[233:234], v[233:234], s[22:23]
	v_add_f64 v[237:238], v[249:250], -v[237:238]
	v_mul_f64 v[249:250], v[197:198], s[22:23]
	s_waitcnt vmcnt(0)
	v_add_f64 v[168:169], v[223:224], v[0:1]
	buffer_load_dword v0, off, s[52:55], 0 offset:292 ; 4-byte Folded Reload
	buffer_load_dword v1, off, s[52:55], 0 offset:296 ; 4-byte Folded Reload
	v_mul_f64 v[223:224], v[231:232], s[34:35]
	v_add_f64 v[168:169], v[168:169], v[180:181]
	v_add_f64 v[180:181], v[209:210], -v[185:186]
	v_mov_b32_e32 v210, v9
	v_mov_b32_e32 v209, v8
	v_mul_f64 v[8:9], v[227:228], s[42:43]
	v_add_f64 v[223:224], v[223:224], v[170:171]
	v_mul_f64 v[170:171], v[203:204], s[8:9]
	v_mul_f64 v[185:186], v[201:202], s[28:29]
	;; [unrolled: 1-line block ×3, first 2 shown]
	v_add_f64 v[180:181], v[102:103], v[180:181]
	s_waitcnt vmcnt(0)
	v_add_f64 v[6:7], v[6:7], v[0:1]
	buffer_load_dword v0, off, s[52:55], 0 offset:164 ; 4-byte Folded Reload
	buffer_load_dword v1, off, s[52:55], 0 offset:168 ; 4-byte Folded Reload
	v_add_f64 v[6:7], v[6:7], v[168:169]
	v_add_f64 v[168:169], v[170:171], v[241:242]
	v_mul_f64 v[170:171], v[253:254], s[30:31]
	v_mul_f64 v[241:242], v[227:228], s[30:31]
	v_add_f64 v[6:7], v[182:183], v[6:7]
	v_mul_f64 v[182:183], v[227:228], s[24:25]
	v_add_f64 v[170:171], v[205:206], -v[170:171]
	v_mul_f64 v[205:206], v[225:226], s[34:35]
	v_mul_f64 v[227:228], v[227:228], s[44:45]
	v_add_f64 v[6:7], v[168:169], v[6:7]
	v_mul_f64 v[168:169], v[253:254], s[28:29]
	s_waitcnt vmcnt(0)
	v_add_f64 v[243:244], v[0:1], -v[243:244]
	buffer_load_dword v0, off, s[52:55], 0 offset:260 ; 4-byte Folded Reload
	buffer_load_dword v1, off, s[52:55], 0 offset:264 ; 4-byte Folded Reload
	v_add_f64 v[180:181], v[243:244], v[180:181]
	v_mul_f64 v[243:244], v[225:226], s[26:27]
	v_mul_f64 v[225:226], v[225:226], s[8:9]
	s_waitcnt vmcnt(0)
	v_add_f64 v[8:9], v[0:1], -v[8:9]
	v_mov_b32_e32 v0, v48
	v_mov_b32_e32 v1, v49
	v_mul_f64 v[48:49], v[251:252], s[34:35]
	v_add_f64 v[8:9], v[8:9], v[180:181]
	v_add_f64 v[180:181], v[199:200], v[0:1]
	v_mov_b32_e32 v0, v18
	v_mov_b32_e32 v1, v19
	buffer_load_dword v18, off, s[52:55], 0 offset:236 ; 4-byte Folded Reload
	buffer_load_dword v19, off, s[52:55], 0 offset:240 ; 4-byte Folded Reload
	;; [unrolled: 1-line block ×4, first 2 shown]
	v_mul_f64 v[199:200], v[251:252], s[20:21]
	v_add_f64 v[8:9], v[170:171], v[8:9]
	v_mul_f64 v[170:171], v[251:252], s[18:19]
	v_add_f64 v[180:181], v[180:181], v[189:190]
	v_mul_f64 v[189:190], v[203:204], s[20:21]
	v_add_f64 v[8:9], v[12:13], v[8:9]
	v_mul_f64 v[12:13], v[203:204], s[26:27]
	v_add_f64 v[170:171], v[170:171], v[191:192]
	v_mul_f64 v[191:192], v[203:204], s[18:19]
	v_mul_f64 v[203:204], v[203:204], s[10:11]
	v_add_f64 v[12:13], v[12:13], v[221:222]
	v_mul_f64 v[221:222], v[231:232], s[26:27]
	s_waitcnt vmcnt(2)
	v_add_f64 v[18:19], v[225:226], v[18:19]
	v_mul_f64 v[225:226], v[251:252], s[8:9]
	v_mul_f64 v[251:252], v[253:254], s[42:43]
	;; [unrolled: 1-line block ×4, first 2 shown]
	v_add_f64 v[18:19], v[18:19], v[180:181]
	v_add_f64 v[180:181], v[229:230], -v[174:175]
	v_mul_f64 v[174:175], v[231:232], s[10:11]
	v_mul_f64 v[229:230], v[231:232], s[8:9]
	;; [unrolled: 1-line block ×3, first 2 shown]
	v_add_f64 v[18:19], v[170:171], v[18:19]
	s_waitcnt vmcnt(0)
	v_add_f64 v[170:171], v[50:51], v[88:89]
	v_add_f64 v[247:248], v[174:175], v[247:248]
	;; [unrolled: 1-line block ×5, first 2 shown]
	v_add_f64 v[8:9], v[209:210], -v[207:208]
	v_add_f64 v[88:89], v[102:103], v[106:107]
	v_add_f64 v[12:13], v[12:13], v[18:19]
	buffer_load_dword v18, off, s[52:55], 0 offset:148 ; 4-byte Folded Reload
	buffer_load_dword v19, off, s[52:55], 0 offset:152 ; 4-byte Folded Reload
	v_add_f64 v[106:107], v[239:240], v[195:196]
	v_add_f64 v[172:173], v[223:224], v[6:7]
	;; [unrolled: 1-line block ×3, first 2 shown]
	v_add_f64 v[10:11], v[0:1], -v[185:186]
	buffer_load_dword v0, off, s[52:55], 0 offset:244 ; 4-byte Folded Reload
	buffer_load_dword v1, off, s[52:55], 0 offset:248 ; 4-byte Folded Reload
	v_add_f64 v[8:9], v[102:103], v[8:9]
	v_add_f64 v[88:89], v[88:89], v[110:111]
	;; [unrolled: 1-line block ×16, first 2 shown]
	s_waitcnt vmcnt(2)
	v_add_f64 v[18:19], v[18:19], -v[227:228]
	s_waitcnt vmcnt(0)
	v_add_f64 v[108:109], v[0:1], -v[251:252]
	buffer_load_dword v0, off, s[52:55], 0 offset:332 ; 4-byte Folded Reload
	buffer_load_dword v1, off, s[52:55], 0 offset:336 ; 4-byte Folded Reload
	v_add_f64 v[2:3], v[18:19], v[2:3]
	v_add_f64 v[18:19], v[235:236], -v[182:183]
	v_add_f64 v[2:3], v[108:109], v[2:3]
	v_add_f64 v[8:9], v[18:19], v[8:9]
	;; [unrolled: 1-line block ×3, first 2 shown]
	v_add_f64 v[88:89], v[4:5], -v[233:234]
	v_add_f64 v[128:129], v[217:218], -v[193:194]
	s_waitcnt vmcnt(0)
	v_add_f64 v[104:105], v[0:1], -v[197:198]
	buffer_load_dword v0, off, s[52:55], 0 offset:308 ; 4-byte Folded Reload
	buffer_load_dword v1, off, s[52:55], 0 offset:312 ; 4-byte Folded Reload
	v_add_f64 v[2:3], v[104:105], v[2:3]
	v_add_f64 v[94:95], v[88:89], v[2:3]
	s_waitcnt vmcnt(0)
	v_add_f64 v[120:121], v[205:206], v[0:1]
	buffer_load_dword v0, off, s[52:55], 0 offset:220 ; 4-byte Folded Reload
	buffer_load_dword v1, off, s[52:55], 0 offset:224 ; 4-byte Folded Reload
	v_add_f64 v[106:107], v[120:121], v[106:107]
	s_waitcnt vmcnt(0)
	v_add_f64 v[16:17], v[0:1], -v[16:17]
	buffer_load_dword v0, off, s[52:55], 0 offset:228 ; 4-byte Folded Reload
	buffer_load_dword v1, off, s[52:55], 0 offset:232 ; 4-byte Folded Reload
	v_add_f64 v[8:9], v[16:17], v[8:9]
	v_add_f64 v[16:17], v[18:19], v[132:133]
	;; [unrolled: 1-line block ×8, first 2 shown]
	s_waitcnt vmcnt(0)
	v_add_f64 v[108:109], v[225:226], v[0:1]
	buffer_load_dword v0, off, s[52:55], 0 offset:316 ; 4-byte Folded Reload
	buffer_load_dword v1, off, s[52:55], 0 offset:320 ; 4-byte Folded Reload
	v_add_f64 v[106:107], v[108:109], v[106:107]
	s_waitcnt vmcnt(0)
	v_add_f64 v[104:105], v[0:1], -v[253:254]
	buffer_load_dword v0, off, s[52:55], 0 offset:372 ; 4-byte Folded Reload
	buffer_load_dword v1, off, s[52:55], 0 offset:376 ; 4-byte Folded Reload
	v_add_f64 v[8:9], v[104:105], v[8:9]
	s_waitcnt vmcnt(0)
	v_add_f64 v[18:19], v[231:232], v[0:1]
	buffer_load_dword v0, off, s[52:55], 0 offset:324 ; 4-byte Folded Reload
	buffer_load_dword v1, off, s[52:55], 0 offset:328 ; 4-byte Folded Reload
	s_waitcnt vmcnt(0)
	v_add_f64 v[110:111], v[203:204], v[0:1]
	buffer_load_dword v0, off, s[52:55], 0 offset:364 ; 4-byte Folded Reload
	buffer_load_dword v1, off, s[52:55], 0 offset:368 ; 4-byte Folded Reload
	v_add_f64 v[92:93], v[110:111], v[106:107]
	v_add_f64 v[106:107], v[16:17], v[96:97]
	;; [unrolled: 1-line block ×3, first 2 shown]
	s_waitcnt vmcnt(0)
	v_add_f64 v[108:109], v[0:1], -v[187:188]
	buffer_load_dword v0, off, s[52:55], 0 offset:204 ; 4-byte Folded Reload
	buffer_load_dword v1, off, s[52:55], 0 offset:208 ; 4-byte Folded Reload
	;; [unrolled: 1-line block ×4, first 2 shown]
	s_waitcnt vmcnt(0)
	v_add_f64 v[120:121], v[0:1], -v[4:5]
	buffer_load_dword v0, off, s[52:55], 0 offset:172 ; 4-byte Folded Reload
	buffer_load_dword v1, off, s[52:55], 0 offset:176 ; 4-byte Folded Reload
	;; [unrolled: 1-line block ×4, first 2 shown]
	v_add_f64 v[102:103], v[102:103], v[120:121]
	v_add_f64 v[120:121], v[243:244], v[219:220]
	;; [unrolled: 1-line block ×3, first 2 shown]
	s_waitcnt vmcnt(0)
	v_add_f64 v[104:105], v[4:5], v[0:1]
	buffer_load_dword v0, off, s[52:55], 0 offset:388 ; 4-byte Folded Reload
	buffer_load_dword v1, off, s[52:55], 0 offset:392 ; 4-byte Folded Reload
	v_add_f64 v[4:5], v[245:246], v[213:214]
	v_add_f64 v[104:105], v[100:101], v[104:105]
	;; [unrolled: 1-line block ×3, first 2 shown]
	s_waitcnt vmcnt(0)
	v_add_f64 v[122:123], v[0:1], v[211:212]
	v_add_f64 v[0:1], v[178:179], v[14:15]
	buffer_load_dword v14, off, s[52:55], 0 offset:404 ; 4-byte Folded Reload
	buffer_load_dword v15, off, s[52:55], 0 offset:408 ; 4-byte Folded Reload
	v_add_f64 v[178:179], v[247:248], v[12:13]
	v_add_f64 v[100:101], v[100:101], v[122:123]
	v_add_f64 v[122:123], v[176:177], -v[241:242]
	v_add_f64 v[0:1], v[0:1], v[100:101]
	v_add_f64 v[102:103], v[122:123], v[102:103]
	v_add_f64 v[0:1], v[120:121], v[0:1]
	s_waitcnt vmcnt(0)
	v_add_f64 v[128:129], v[201:202], v[14:15]
	buffer_load_dword v14, off, s[52:55], 0 offset:212 ; 4-byte Folded Reload
	buffer_load_dword v15, off, s[52:55], 0 offset:216 ; 4-byte Folded Reload
	v_add_f64 v[4:5], v[128:129], v[4:5]
	s_waitcnt vmcnt(0)
	v_add_f64 v[100:101], v[199:200], v[14:15]
	buffer_load_dword v14, off, s[52:55], 0 offset:188 ; 4-byte Folded Reload
	buffer_load_dword v15, off, s[52:55], 0 offset:192 ; 4-byte Folded Reload
	v_add_f64 v[0:1], v[100:101], v[0:1]
	v_add_f64 v[100:101], v[108:109], v[8:9]
	;; [unrolled: 1-line block ×3, first 2 shown]
	s_waitcnt vmcnt(0)
	v_add_f64 v[104:105], v[14:15], -v[168:169]
	buffer_load_dword v14, off, s[52:55], 0 offset:180 ; 4-byte Folded Reload
	buffer_load_dword v15, off, s[52:55], 0 offset:184 ; 4-byte Folded Reload
	buffer_load_dword v22, off, s[52:55], 0 offset:300 ; 4-byte Folded Reload
	buffer_load_dword v23, off, s[52:55], 0 offset:304 ; 4-byte Folded Reload
	v_add_f64 v[102:103], v[104:105], v[102:103]
	s_waitcnt vmcnt(2)
	v_add_f64 v[14:15], v[48:49], v[14:15]
	s_waitcnt vmcnt(0)
	v_add_f64 v[116:117], v[191:192], v[22:23]
	buffer_load_dword v22, off, s[52:55], 0 offset:284 ; 4-byte Folded Reload
	buffer_load_dword v23, off, s[52:55], 0 offset:288 ; 4-byte Folded Reload
	v_add_f64 v[4:5], v[14:15], v[4:5]
	v_add_f64 v[0:1], v[116:117], v[0:1]
	s_waitcnt vmcnt(0)
	v_add_f64 v[118:119], v[22:23], -v[249:250]
	buffer_load_dword v22, off, s[52:55], 0 offset:276 ; 4-byte Folded Reload
	buffer_load_dword v23, off, s[52:55], 0 offset:280 ; 4-byte Folded Reload
	;; [unrolled: 1-line block ×4, first 2 shown]
	s_waitcnt vmcnt(2)
	v_add_f64 v[104:105], v[189:190], v[22:23]
	s_waitcnt vmcnt(0)
	v_add_f64 v[14:15], v[229:230], v[14:15]
	buffer_load_dword v22, off, s[52:55], 0 offset:348 ; 4-byte Folded Reload
	buffer_load_dword v23, off, s[52:55], 0 offset:352 ; 4-byte Folded Reload
	;; [unrolled: 1-line block ×4, first 2 shown]
	v_add_f64 v[4:5], v[104:105], v[4:5]
	v_add_f64 v[98:99], v[14:15], v[0:1]
	buffer_load_dword v0, off, s[52:55], 0 offset:156 ; 4-byte Folded Reload
	buffer_load_dword v1, off, s[52:55], 0 offset:160 ; 4-byte Folded Reload
	;; [unrolled: 1-line block ×4, first 2 shown]
	s_waitcnt vmcnt(6)
	v_add_f64 v[20:21], v[22:23], -v[20:21]
	v_add_f64 v[22:23], v[118:119], v[102:103]
	s_waitcnt vmcnt(4)
	v_add_f64 v[102:103], v[221:222], v[48:49]
	s_waitcnt vmcnt(0)
	v_add_f64 v[168:169], v[0:1], v[2:3]
	buffer_load_dword v0, off, s[52:55], 0 offset:8 ; 4-byte Folded Reload
	v_add_f64 v[104:105], v[20:21], v[22:23]
	v_add_f64 v[102:103], v[102:103], v[4:5]
	v_mul_lo_u16_e32 v1, 13, v255
	s_waitcnt vmcnt(0)
	v_lshl_add_u32 v0, v1, 4, v0
	ds_write_b128 v0, v[106:109]
	ds_write_b128 v0, v[102:105] offset:16
	ds_write_b128 v0, v[98:101] offset:32
	;; [unrolled: 1-line block ×12, first 2 shown]
.LBB0_17:
	s_or_b64 exec, exec, s[50:51]
	s_waitcnt lgkmcnt(0)
	s_barrier
	ds_read_b128 v[92:95], v184
	ds_read_b128 v[116:119], v184 offset:2288
	ds_read_b128 v[112:115], v184 offset:4576
	;; [unrolled: 1-line block ×6, first 2 shown]
	s_and_saveexec_b64 s[8:9], s[2:3]
	s_cbranch_execz .LBB0_19
; %bb.18:
	ds_read_b128 v[156:159], v184 offset:1456
	ds_read_b128 v[160:163], v184 offset:3744
	;; [unrolled: 1-line block ×7, first 2 shown]
	s_waitcnt lgkmcnt(0)
	buffer_store_dword v0, off, s[52:55], 0 offset:12 ; 4-byte Folded Spill
	s_nop 0
	buffer_store_dword v1, off, s[52:55], 0 offset:16 ; 4-byte Folded Spill
	buffer_store_dword v2, off, s[52:55], 0 offset:20 ; 4-byte Folded Spill
	;; [unrolled: 1-line block ×3, first 2 shown]
.LBB0_19:
	s_or_b64 exec, exec, s[8:9]
	s_waitcnt lgkmcnt(5)
	v_mul_f64 v[0:1], v[38:39], v[118:119]
	v_mul_f64 v[2:3], v[38:39], v[116:117]
	s_waitcnt lgkmcnt(4)
	v_mul_f64 v[4:5], v[34:35], v[114:115]
	v_mul_f64 v[6:7], v[34:35], v[112:113]
	s_waitcnt lgkmcnt(0)
	v_mul_f64 v[8:9], v[42:43], v[110:111]
	v_mul_f64 v[10:11], v[42:43], v[108:109]
	v_mul_f64 v[16:17], v[46:47], v[106:107]
	v_mul_f64 v[18:19], v[46:47], v[104:105]
	v_fma_f64 v[0:1], v[36:37], v[116:117], v[0:1]
	v_fma_f64 v[2:3], v[36:37], v[118:119], -v[2:3]
	v_fma_f64 v[4:5], v[32:33], v[112:113], v[4:5]
	v_fma_f64 v[6:7], v[32:33], v[114:115], -v[6:7]
	v_mul_f64 v[12:13], v[30:31], v[102:103]
	v_mul_f64 v[14:15], v[30:31], v[100:101]
	;; [unrolled: 1-line block ×4, first 2 shown]
	v_fma_f64 v[8:9], v[40:41], v[108:109], v[8:9]
	v_fma_f64 v[10:11], v[40:41], v[110:111], -v[10:11]
	v_fma_f64 v[16:17], v[44:45], v[104:105], v[16:17]
	v_fma_f64 v[18:19], v[44:45], v[106:107], -v[18:19]
	;; [unrolled: 2-line block ×4, first 2 shown]
	v_add_f64 v[24:25], v[0:1], v[8:9]
	v_add_f64 v[26:27], v[2:3], v[10:11]
	v_add_f64 v[0:1], v[0:1], -v[8:9]
	v_add_f64 v[2:3], v[2:3], -v[10:11]
	v_add_f64 v[8:9], v[4:5], v[16:17]
	v_add_f64 v[10:11], v[6:7], v[18:19]
	v_add_f64 v[4:5], v[4:5], -v[16:17]
	v_add_f64 v[6:7], v[6:7], -v[18:19]
	;; [unrolled: 4-line block ×4, first 2 shown]
	v_add_f64 v[32:33], v[24:25], -v[16:17]
	v_add_f64 v[34:35], v[26:27], -v[18:19]
	;; [unrolled: 1-line block ×4, first 2 shown]
	v_add_f64 v[24:25], v[12:13], v[4:5]
	v_add_f64 v[26:27], v[14:15], v[6:7]
	v_add_f64 v[36:37], v[12:13], -v[4:5]
	v_add_f64 v[38:39], v[14:15], -v[6:7]
	v_add_f64 v[16:17], v[16:17], v[20:21]
	v_add_f64 v[18:19], v[18:19], v[22:23]
	v_add_f64 v[4:5], v[4:5], -v[0:1]
	v_add_f64 v[6:7], v[6:7], -v[2:3]
	s_mov_b32 s20, 0x37e14327
	s_mov_b32 s10, 0x36b3c0b5
	;; [unrolled: 1-line block ×7, first 2 shown]
	v_add_f64 v[12:13], v[0:1], -v[12:13]
	v_add_f64 v[14:15], v[2:3], -v[14:15]
	v_add_f64 v[0:1], v[24:25], v[0:1]
	v_add_f64 v[2:3], v[26:27], v[2:3]
	;; [unrolled: 1-line block ×4, first 2 shown]
	v_mul_f64 v[20:21], v[32:33], s[20:21]
	v_mul_f64 v[22:23], v[34:35], s[20:21]
	;; [unrolled: 1-line block ×6, first 2 shown]
	s_mov_b32 s9, 0xbfebfeb5
	v_mul_f64 v[40:41], v[4:5], s[8:9]
	v_mul_f64 v[42:43], v[6:7], s[8:9]
	s_mov_b32 s22, 0xaaaaaaaa
	s_mov_b32 s16, 0x5476071b
	;; [unrolled: 1-line block ×8, first 2 shown]
	v_fma_f64 v[16:17], v[16:17], s[22:23], v[24:25]
	v_fma_f64 v[18:19], v[18:19], s[22:23], v[26:27]
	;; [unrolled: 1-line block ×4, first 2 shown]
	v_fma_f64 v[32:33], v[28:29], s[16:17], -v[32:33]
	v_fma_f64 v[34:35], v[30:31], s[16:17], -v[34:35]
	;; [unrolled: 1-line block ×4, first 2 shown]
	v_fma_f64 v[28:29], v[12:13], s[28:29], v[36:37]
	v_fma_f64 v[30:31], v[14:15], s[28:29], v[38:39]
	s_mov_b32 s31, 0x3fd5d0dc
	s_mov_b32 s30, s28
	v_fma_f64 v[12:13], v[12:13], s[30:31], -v[40:41]
	v_fma_f64 v[14:15], v[14:15], s[30:31], -v[42:43]
	;; [unrolled: 1-line block ×4, first 2 shown]
	s_mov_b32 s24, 0x37c3f68c
	s_mov_b32 s25, 0xbfdc38aa
	v_add_f64 v[8:9], v[8:9], v[16:17]
	v_add_f64 v[10:11], v[10:11], v[18:19]
	;; [unrolled: 1-line block ×6, first 2 shown]
	v_fma_f64 v[20:21], v[2:3], s[24:25], v[30:31]
	v_fma_f64 v[22:23], v[0:1], s[24:25], v[28:29]
	;; [unrolled: 1-line block ×6, first 2 shown]
	s_waitcnt vmcnt(0)
	s_barrier
	v_add_f64 v[28:29], v[20:21], v[8:9]
	v_add_f64 v[30:31], v[10:11], -v[22:23]
	v_add_f64 v[32:33], v[14:15], v[16:17]
	v_add_f64 v[34:35], v[18:19], -v[12:13]
	v_add_f64 v[36:37], v[40:41], -v[2:3]
	v_add_f64 v[38:39], v[0:1], v[42:43]
	v_add_f64 v[40:41], v[2:3], v[40:41]
	v_add_f64 v[42:43], v[42:43], -v[0:1]
	v_add_f64 v[44:45], v[16:17], -v[14:15]
	v_add_f64 v[46:47], v[12:13], v[18:19]
	v_add_f64 v[92:93], v[8:9], -v[20:21]
	v_add_f64 v[94:95], v[22:23], v[10:11]
	ds_write_b128 v91, v[24:27]
	ds_write_b128 v91, v[28:31] offset:208
	ds_write_b128 v91, v[32:35] offset:416
	;; [unrolled: 1-line block ×6, first 2 shown]
	s_and_saveexec_b64 s[34:35], s[2:3]
	s_cbranch_execz .LBB0_21
; %bb.20:
	buffer_load_dword v24, off, s[52:55], 0 offset:84 ; 4-byte Folded Reload
	buffer_load_dword v25, off, s[52:55], 0 offset:88 ; 4-byte Folded Reload
	;; [unrolled: 1-line block ×28, first 2 shown]
	s_waitcnt vmcnt(24)
	v_mul_f64 v[14:15], v[26:27], v[160:161]
	s_waitcnt vmcnt(18)
	v_mul_f64 v[12:13], v[30:31], v[44:45]
	v_mul_f64 v[0:1], v[26:27], v[162:163]
	s_waitcnt vmcnt(16)
	v_mul_f64 v[2:3], v[30:31], v[46:47]
	s_waitcnt vmcnt(4)
	;; [unrolled: 2-line block ×3, first 2 shown]
	v_mul_f64 v[16:17], v[42:43], v[144:145]
	v_mul_f64 v[18:19], v[22:23], v[164:165]
	;; [unrolled: 1-line block ×5, first 2 shown]
	v_fma_f64 v[12:13], v[28:29], v[46:47], -v[12:13]
	v_fma_f64 v[14:15], v[24:25], v[162:163], -v[14:15]
	v_fma_f64 v[8:9], v[20:21], v[164:165], v[8:9]
	v_fma_f64 v[16:17], v[40:41], v[146:147], -v[16:17]
	v_fma_f64 v[18:19], v[20:21], v[166:167], -v[18:19]
	v_mul_f64 v[20:21], v[38:39], v[152:153]
	v_mul_f64 v[22:23], v[34:35], v[148:149]
	v_fma_f64 v[4:5], v[32:33], v[148:149], v[4:5]
	v_fma_f64 v[6:7], v[36:37], v[152:153], v[6:7]
	v_fma_f64 v[10:11], v[40:41], v[144:145], v[10:11]
	v_fma_f64 v[0:1], v[24:25], v[160:161], v[0:1]
	v_fma_f64 v[2:3], v[28:29], v[44:45], v[2:3]
	v_add_f64 v[28:29], v[14:15], v[12:13]
	v_add_f64 v[30:31], v[18:19], v[16:17]
	v_fma_f64 v[20:21], v[36:37], v[154:155], -v[20:21]
	v_fma_f64 v[22:23], v[32:33], v[150:151], -v[22:23]
	v_add_f64 v[24:25], v[4:5], -v[6:7]
	v_add_f64 v[26:27], v[8:9], -v[10:11]
	v_add_f64 v[8:9], v[8:9], v[10:11]
	v_add_f64 v[32:33], v[0:1], -v[2:3]
	v_add_f64 v[42:43], v[0:1], v[2:3]
	v_add_f64 v[36:37], v[30:31], v[28:29]
	;; [unrolled: 1-line block ×4, first 2 shown]
	v_add_f64 v[16:17], v[18:19], -v[16:17]
	v_add_f64 v[34:35], v[24:25], -v[26:27]
	v_add_f64 v[0:1], v[24:25], v[26:27]
	v_add_f64 v[40:41], v[32:33], -v[24:25]
	v_add_f64 v[6:7], v[8:9], v[42:43]
	v_add_f64 v[12:13], v[14:15], -v[12:13]
	v_add_f64 v[20:21], v[22:23], -v[20:21]
	v_add_f64 v[24:25], v[38:39], v[36:37]
	v_add_f64 v[18:19], v[42:43], -v[4:5]
	;; [unrolled: 3-line block ×4, first 2 shown]
	v_add_f64 v[2:3], v[158:159], v[24:25]
	v_add_f64 v[44:45], v[20:21], -v[16:17]
	v_mul_f64 v[18:19], v[18:19], s[20:21]
	v_add_f64 v[4:5], v[4:5], -v[8:9]
	v_add_f64 v[16:17], v[20:21], v[16:17]
	v_mul_f64 v[14:15], v[38:39], s[10:11]
	v_add_f64 v[28:29], v[30:31], -v[28:29]
	v_add_f64 v[8:9], v[8:9], -v[42:43]
	v_fma_f64 v[22:23], v[24:25], s[22:23], v[2:3]
	v_mul_f64 v[24:25], v[0:1], s[20:21]
	v_add_f64 v[0:1], v[156:157], v[6:7]
	v_mul_f64 v[30:31], v[46:47], s[8:9]
	v_mul_f64 v[44:45], v[44:45], s[18:19]
	;; [unrolled: 1-line block ×4, first 2 shown]
	v_fma_f64 v[32:33], v[38:39], s[10:11], v[24:25]
	v_add_f64 v[38:39], v[12:13], -v[20:21]
	v_fma_f64 v[20:21], v[6:7], s[22:23], v[0:1]
	v_fma_f64 v[6:7], v[4:5], s[10:11], v[18:19]
	v_add_f64 v[12:13], v[16:17], v[12:13]
	v_mul_f64 v[4:5], v[4:5], s[10:11]
	v_fma_f64 v[18:19], v[8:9], s[26:27], -v[18:19]
	v_fma_f64 v[24:25], v[28:29], s[26:27], -v[24:25]
	v_add_f64 v[16:17], v[32:33], v[22:23]
	v_fma_f64 v[30:31], v[38:39], s[30:31], -v[30:31]
	v_fma_f64 v[42:43], v[38:39], s[28:29], v[44:45]
	v_fma_f64 v[32:33], v[40:41], s[30:31], -v[88:89]
	v_add_f64 v[38:39], v[6:7], v[20:21]
	v_fma_f64 v[6:7], v[28:29], s[16:17], -v[14:15]
	v_add_f64 v[28:29], v[18:19], v[20:21]
	v_fma_f64 v[8:9], v[8:9], s[16:17], -v[4:5]
	v_fma_f64 v[34:35], v[40:41], s[28:29], v[10:11]
	v_fma_f64 v[30:31], v[12:13], s[24:25], v[30:31]
	v_fma_f64 v[10:11], v[26:27], s[8:9], -v[10:11]
	v_fma_f64 v[26:27], v[36:37], s[24:25], v[32:33]
	v_fma_f64 v[14:15], v[46:47], s[8:9], -v[44:45]
	v_fma_f64 v[40:41], v[12:13], s[24:25], v[42:43]
	v_add_f64 v[24:25], v[24:25], v[22:23]
	v_add_f64 v[32:33], v[8:9], v[20:21]
	v_fma_f64 v[34:35], v[36:37], s[24:25], v[34:35]
	v_add_f64 v[8:9], v[28:29], -v[30:31]
	v_add_f64 v[20:21], v[30:31], v[28:29]
	buffer_load_dword v28, off, s[52:55], 0 offset:28 ; 4-byte Folded Reload
	buffer_load_dword v29, off, s[52:55], 0 offset:32 ; 4-byte Folded Reload
	v_add_f64 v[18:19], v[6:7], v[22:23]
	v_fma_f64 v[22:23], v[36:37], s[24:25], v[10:11]
	v_fma_f64 v[12:13], v[12:13], s[24:25], v[14:15]
	v_add_f64 v[10:11], v[26:27], v[24:25]
	v_add_f64 v[6:7], v[34:35], v[16:17]
	v_add_f64 v[4:5], v[38:39], -v[40:41]
	v_add_f64 v[14:15], v[18:19], -v[22:23]
	v_add_f64 v[18:19], v[22:23], v[18:19]
	v_add_f64 v[22:23], v[24:25], -v[26:27]
	v_add_f64 v[26:27], v[16:17], -v[34:35]
	v_add_f64 v[24:25], v[40:41], v[38:39]
	v_add_f64 v[16:17], v[32:33], -v[12:13]
	v_add_f64 v[12:13], v[12:13], v[32:33]
	s_waitcnt vmcnt(1)
	v_mul_u32_u24_e32 v28, 0x5b, v28
	s_waitcnt vmcnt(0)
	v_add_u32_sdwa v28, v28, v29 dst_sel:DWORD dst_unused:UNUSED_PAD src0_sel:DWORD src1_sel:BYTE_0
	buffer_load_dword v29, off, s[52:55], 0 offset:8 ; 4-byte Folded Reload
	s_waitcnt vmcnt(0)
	v_lshl_add_u32 v28, v28, 4, v29
	ds_write_b128 v28, v[0:3]
	ds_write_b128 v28, v[24:27] offset:208
	ds_write_b128 v28, v[20:23] offset:416
	;; [unrolled: 1-line block ×6, first 2 shown]
.LBB0_21:
	s_or_b64 exec, exec, s[34:35]
	s_waitcnt lgkmcnt(0)
	s_barrier
	ds_read_b128 v[0:3], v184 offset:1456
	ds_read_b128 v[8:11], v184 offset:4368
	;; [unrolled: 1-line block ×3, first 2 shown]
	s_mov_b32 s16, 0xf8bb580b
	s_mov_b32 s17, 0xbfe14ced
	s_waitcnt lgkmcnt(2)
	v_mul_f64 v[12:13], v[86:87], v[2:3]
	v_mul_f64 v[14:15], v[86:87], v[0:1]
	s_waitcnt lgkmcnt(1)
	v_mul_f64 v[20:21], v[62:63], v[10:11]
	v_mul_f64 v[22:23], v[62:63], v[8:9]
	s_mov_b32 s10, 0x8764f0ba
	s_mov_b32 s2, 0x8eee2c13
	;; [unrolled: 1-line block ×4, first 2 shown]
	v_fma_f64 v[28:29], v[84:85], v[0:1], v[12:13]
	v_fma_f64 v[30:31], v[84:85], v[2:3], -v[14:15]
	ds_read_b128 v[12:15], v184
	s_waitcnt lgkmcnt(1)
	v_mul_f64 v[16:17], v[78:79], v[6:7]
	v_mul_f64 v[18:19], v[78:79], v[4:5]
	ds_read_b128 v[0:3], v184 offset:5824
	v_fma_f64 v[36:37], v[60:61], v[8:9], v[20:21]
	v_fma_f64 v[38:39], v[60:61], v[10:11], -v[22:23]
	s_mov_b32 s24, 0x640f44db
	s_mov_b32 s28, 0xbb3a28a1
	s_mov_b32 s30, 0x7f775887
	v_fma_f64 v[32:33], v[76:77], v[4:5], v[16:17]
	v_fma_f64 v[34:35], v[76:77], v[6:7], -v[18:19]
	ds_read_b128 v[4:7], v184 offset:7280
	s_waitcnt lgkmcnt(2)
	v_add_f64 v[16:17], v[12:13], v[28:29]
	v_add_f64 v[18:19], v[14:15], v[30:31]
	s_waitcnt lgkmcnt(1)
	v_mul_f64 v[24:25], v[54:55], v[2:3]
	v_mul_f64 v[26:27], v[54:55], v[0:1]
	s_waitcnt lgkmcnt(0)
	v_mul_f64 v[40:41], v[82:83], v[6:7]
	v_mul_f64 v[42:43], v[82:83], v[4:5]
	s_mov_b32 s36, 0xfd768dbf
	s_mov_b32 s38, 0x9bcd5057
	v_add_f64 v[20:21], v[16:17], v[32:33]
	v_add_f64 v[22:23], v[18:19], v[34:35]
	ds_read_b128 v[8:11], v184 offset:8736
	ds_read_b128 v[16:19], v184 offset:10192
	v_fma_f64 v[44:45], v[52:53], v[0:1], v[24:25]
	v_fma_f64 v[46:47], v[52:53], v[2:3], -v[26:27]
	v_fma_f64 v[4:5], v[80:81], v[4:5], v[40:41]
	s_waitcnt lgkmcnt(1)
	v_mul_f64 v[60:61], v[66:67], v[10:11]
	v_mul_f64 v[62:63], v[66:67], v[8:9]
	v_add_f64 v[52:53], v[20:21], v[36:37]
	v_add_f64 v[54:55], v[22:23], v[38:39]
	ds_read_b128 v[0:3], v184 offset:11648
	ds_read_b128 v[20:23], v184 offset:13104
	;; [unrolled: 1-line block ×3, first 2 shown]
	buffer_load_dword v48, off, s[52:55], 0 offset:36 ; 4-byte Folded Reload
	buffer_load_dword v49, off, s[52:55], 0 offset:40 ; 4-byte Folded Reload
	;; [unrolled: 1-line block ×4, first 2 shown]
	v_fma_f64 v[6:7], v[80:81], v[6:7], -v[42:43]
	s_mov_b32 s11, 0x3feaeb8c
	v_fma_f64 v[8:9], v[64:65], v[8:9], v[60:61]
	v_fma_f64 v[10:11], v[64:65], v[10:11], -v[62:63]
	v_add_f64 v[40:41], v[52:53], v[44:45]
	v_add_f64 v[42:43], v[54:55], v[46:47]
	s_waitcnt lgkmcnt(3)
	v_mul_f64 v[52:53], v[58:59], v[18:19]
	v_mul_f64 v[54:55], v[58:59], v[16:17]
	s_waitcnt lgkmcnt(0)
	v_mul_f64 v[58:59], v[74:75], v[24:25]
	s_mov_b32 s3, 0xbfed1bb4
	s_mov_b32 s9, 0x3fda9628
	;; [unrolled: 1-line block ×3, first 2 shown]
	v_add_f64 v[40:41], v[40:41], v[4:5]
	v_add_f64 v[42:43], v[42:43], v[6:7]
	v_fma_f64 v[16:17], v[56:57], v[16:17], v[52:53]
	v_fma_f64 v[18:19], v[56:57], v[18:19], -v[54:55]
	v_mul_f64 v[52:53], v[74:75], v[26:27]
	v_fma_f64 v[26:27], v[72:73], v[26:27], -v[58:59]
	v_mul_f64 v[54:55], v[70:71], v[22:23]
	v_mul_f64 v[56:57], v[70:71], v[20:21]
	v_add_f64 v[40:41], v[40:41], v[8:9]
	v_add_f64 v[42:43], v[42:43], v[10:11]
	s_mov_b32 s25, 0xbfc2375f
	s_mov_b32 s29, 0xbfe82f19
	v_fma_f64 v[24:25], v[72:73], v[24:25], v[52:53]
	s_mov_b32 s31, 0xbfe4f49e
	v_fma_f64 v[20:21], v[68:69], v[20:21], v[54:55]
	v_fma_f64 v[22:23], v[68:69], v[22:23], -v[56:57]
	s_mov_b32 s37, 0xbfd207e7
	s_mov_b32 s39, 0xbfeeb42a
	;; [unrolled: 1-line block ×7, first 2 shown]
	v_add_f64 v[80:81], v[34:35], -v[22:23]
	s_mov_b32 s26, s20
	s_mov_b32 s35, 0x3fe82f19
	;; [unrolled: 1-line block ×5, first 2 shown]
	v_add_f64 v[84:85], v[32:33], v[20:21]
	s_waitcnt vmcnt(0)
	v_mul_f64 v[60:61], v[50:51], v[2:3]
	v_mul_f64 v[50:51], v[50:51], v[0:1]
	v_fma_f64 v[58:59], v[48:49], v[0:1], v[60:61]
	v_fma_f64 v[48:49], v[48:49], v[2:3], -v[50:51]
	v_add_f64 v[0:1], v[40:41], v[16:17]
	v_add_f64 v[2:3], v[42:43], v[18:19]
	v_add_f64 v[40:41], v[30:31], -v[26:27]
	v_add_f64 v[30:31], v[30:31], v[26:27]
	v_add_f64 v[42:43], v[28:29], v[24:25]
	v_add_f64 v[28:29], v[28:29], -v[24:25]
	v_add_f64 v[0:1], v[0:1], v[58:59]
	v_add_f64 v[2:3], v[2:3], v[48:49]
	v_mul_f64 v[50:51], v[40:41], s[16:17]
	v_mul_f64 v[52:53], v[30:31], s[10:11]
	v_mul_f64 v[56:57], v[40:41], s[2:3]
	v_mul_f64 v[60:61], v[30:31], s[8:9]
	v_mul_f64 v[64:65], v[40:41], s[20:21]
	v_mul_f64 v[68:69], v[30:31], s[24:25]
	v_add_f64 v[0:1], v[0:1], v[20:21]
	v_add_f64 v[2:3], v[2:3], v[22:23]
	v_fma_f64 v[54:55], v[42:43], s[10:11], v[50:51]
	v_mul_f64 v[70:71], v[40:41], s[28:29]
	v_mul_f64 v[72:73], v[30:31], s[30:31]
	;; [unrolled: 1-line block ×4, first 2 shown]
	v_add_f64 v[22:23], v[34:35], v[22:23]
	v_fma_f64 v[62:63], v[28:29], s[22:23], v[52:53]
	v_add_f64 v[0:1], v[0:1], v[24:25]
	v_add_f64 v[2:3], v[2:3], v[26:27]
	v_fma_f64 v[24:25], v[42:43], s[10:11], -v[50:51]
	v_add_f64 v[26:27], v[12:13], v[54:55]
	v_fma_f64 v[50:51], v[28:29], s[16:17], v[52:53]
	v_fma_f64 v[54:55], v[28:29], s[18:19], v[60:61]
	;; [unrolled: 1-line block ×9, first 2 shown]
	v_add_f64 v[20:21], v[32:33], -v[20:21]
	v_mul_f64 v[32:33], v[80:81], s[2:3]
	v_mul_f64 v[86:87], v[22:23], s[8:9]
	v_fma_f64 v[28:29], v[28:29], s[36:37], v[30:31]
	v_fma_f64 v[52:53], v[42:43], s[8:9], v[56:57]
	v_add_f64 v[62:63], v[14:15], v[62:63]
	v_add_f64 v[24:25], v[12:13], v[24:25]
	;; [unrolled: 1-line block ×4, first 2 shown]
	v_fma_f64 v[56:57], v[42:43], s[8:9], -v[56:57]
	v_fma_f64 v[66:67], v[42:43], s[24:25], v[64:65]
	v_fma_f64 v[64:65], v[42:43], s[24:25], -v[64:65]
	v_fma_f64 v[76:77], v[42:43], s[30:31], v[70:71]
	v_add_f64 v[60:61], v[14:15], v[60:61]
	v_add_f64 v[74:75], v[14:15], v[74:75]
	;; [unrolled: 1-line block ×4, first 2 shown]
	v_fma_f64 v[70:71], v[42:43], s[30:31], -v[70:71]
	v_add_f64 v[72:73], v[14:15], v[72:73]
	v_fma_f64 v[40:41], v[42:43], s[38:39], -v[40:41]
	v_add_f64 v[30:31], v[12:13], v[34:35]
	v_add_f64 v[34:35], v[14:15], v[82:83]
	v_mul_f64 v[42:43], v[80:81], s[28:29]
	v_mul_f64 v[82:83], v[22:23], s[30:31]
	v_fma_f64 v[88:89], v[84:85], s[8:9], v[32:33]
	v_fma_f64 v[91:92], v[20:21], s[18:19], v[86:87]
	v_add_f64 v[14:15], v[14:15], v[28:29]
	v_fma_f64 v[28:29], v[84:85], s[8:9], -v[32:33]
	v_fma_f64 v[32:33], v[20:21], s[2:3], v[86:87]
	v_add_f64 v[52:53], v[12:13], v[52:53]
	v_add_f64 v[56:57], v[12:13], v[56:57]
	;; [unrolled: 1-line block ×7, first 2 shown]
	v_fma_f64 v[40:41], v[84:85], s[30:31], v[42:43]
	v_fma_f64 v[86:87], v[20:21], s[34:35], v[82:83]
	v_add_f64 v[26:27], v[88:89], v[26:27]
	v_add_f64 v[62:63], v[91:92], v[62:63]
	v_mul_f64 v[88:89], v[80:81], s[40:41]
	v_mul_f64 v[91:92], v[22:23], s[38:39]
	v_add_f64 v[24:25], v[28:29], v[24:25]
	v_add_f64 v[28:29], v[32:33], v[50:51]
	v_fma_f64 v[42:43], v[84:85], s[30:31], -v[42:43]
	v_fma_f64 v[50:51], v[20:21], s[28:29], v[82:83]
	v_mul_f64 v[82:83], v[80:81], s[26:27]
	v_add_f64 v[32:33], v[40:41], v[52:53]
	v_add_f64 v[40:41], v[86:87], v[54:55]
	v_fma_f64 v[52:53], v[84:85], s[38:39], v[88:89]
	v_fma_f64 v[54:55], v[20:21], s[36:37], v[91:92]
	v_mul_f64 v[86:87], v[22:23], s[24:25]
	v_fma_f64 v[91:92], v[20:21], s[40:41], v[91:92]
	v_add_f64 v[42:43], v[42:43], v[56:57]
	v_fma_f64 v[56:57], v[84:85], s[24:25], v[82:83]
	v_mul_f64 v[80:81], v[80:81], s[22:23]
	v_mul_f64 v[22:23], v[22:23], s[10:11]
	v_add_f64 v[52:53], v[52:53], v[66:67]
	v_add_f64 v[54:55], v[54:55], v[74:75]
	v_fma_f64 v[74:75], v[20:21], s[26:27], v[86:87]
	v_add_f64 v[66:67], v[91:92], v[68:69]
	v_fma_f64 v[68:69], v[84:85], s[24:25], -v[82:83]
	v_add_f64 v[56:57], v[56:57], v[76:77]
	v_add_f64 v[76:77], v[38:39], -v[48:49]
	v_add_f64 v[50:51], v[50:51], v[60:61]
	v_fma_f64 v[60:61], v[20:21], s[20:21], v[86:87]
	v_add_f64 v[38:39], v[38:39], v[48:49]
	v_fma_f64 v[88:89], v[84:85], s[38:39], -v[88:89]
	v_add_f64 v[48:49], v[68:69], v[70:71]
	v_add_f64 v[68:69], v[74:75], v[72:73]
	v_fma_f64 v[70:71], v[84:85], s[10:11], v[80:81]
	v_fma_f64 v[72:73], v[20:21], s[16:17], v[22:23]
	v_add_f64 v[74:75], v[36:37], v[58:59]
	v_add_f64 v[36:37], v[36:37], -v[58:59]
	v_mul_f64 v[58:59], v[76:77], s[20:21]
	v_add_f64 v[60:61], v[60:61], v[78:79]
	v_mul_f64 v[78:79], v[38:39], s[24:25]
	v_fma_f64 v[20:21], v[20:21], s[22:23], v[22:23]
	v_add_f64 v[22:23], v[70:71], v[30:31]
	v_add_f64 v[30:31], v[72:73], v[34:35]
	v_mul_f64 v[34:35], v[76:77], s[40:41]
	v_fma_f64 v[80:81], v[84:85], s[10:11], -v[80:81]
	v_fma_f64 v[72:73], v[74:75], s[24:25], v[58:59]
	v_mul_f64 v[70:71], v[38:39], s[38:39]
	v_fma_f64 v[82:83], v[36:37], s[26:27], v[78:79]
	v_add_f64 v[14:15], v[20:21], v[14:15]
	v_fma_f64 v[20:21], v[74:75], s[24:25], -v[58:59]
	v_fma_f64 v[58:59], v[36:37], s[20:21], v[78:79]
	v_fma_f64 v[78:79], v[74:75], s[38:39], v[34:35]
	v_add_f64 v[12:13], v[80:81], v[12:13]
	v_add_f64 v[26:27], v[72:73], v[26:27]
	v_mul_f64 v[72:73], v[76:77], s[18:19]
	v_fma_f64 v[80:81], v[36:37], s[36:37], v[70:71]
	v_add_f64 v[62:63], v[82:83], v[62:63]
	v_mul_f64 v[82:83], v[38:39], s[8:9]
	v_add_f64 v[20:21], v[20:21], v[24:25]
	v_add_f64 v[24:25], v[58:59], v[28:29]
	;; [unrolled: 1-line block ×3, first 2 shown]
	v_fma_f64 v[34:35], v[74:75], s[38:39], -v[34:35]
	v_fma_f64 v[58:59], v[74:75], s[8:9], v[72:73]
	v_mul_f64 v[78:79], v[76:77], s[16:17]
	v_add_f64 v[64:65], v[88:89], v[64:65]
	v_add_f64 v[32:33], v[80:81], v[40:41]
	v_fma_f64 v[40:41], v[36:37], s[40:41], v[70:71]
	v_fma_f64 v[70:71], v[36:37], s[2:3], v[82:83]
	v_fma_f64 v[72:73], v[74:75], s[8:9], -v[72:73]
	v_fma_f64 v[82:83], v[36:37], s[18:19], v[82:83]
	v_add_f64 v[34:35], v[34:35], v[42:43]
	v_add_f64 v[42:43], v[58:59], v[52:53]
	v_fma_f64 v[52:53], v[74:75], s[10:11], v[78:79]
	v_mul_f64 v[80:81], v[38:39], s[10:11]
	v_add_f64 v[40:41], v[40:41], v[50:51]
	v_add_f64 v[50:51], v[70:71], v[54:55]
	;; [unrolled: 1-line block ×4, first 2 shown]
	v_mul_f64 v[66:67], v[76:77], s[28:29]
	v_fma_f64 v[70:71], v[74:75], s[10:11], -v[78:79]
	v_add_f64 v[52:53], v[52:53], v[56:57]
	v_add_f64 v[56:57], v[46:47], -v[18:19]
	v_fma_f64 v[54:55], v[36:37], s[22:23], v[80:81]
	v_mul_f64 v[38:39], v[38:39], s[30:31]
	v_fma_f64 v[72:73], v[36:37], s[16:17], v[80:81]
	v_add_f64 v[18:19], v[46:47], v[18:19]
	v_fma_f64 v[46:47], v[74:75], s[30:31], v[66:67]
	v_add_f64 v[48:49], v[70:71], v[48:49]
	v_add_f64 v[70:71], v[44:45], v[16:17]
	v_add_f64 v[16:17], v[44:45], -v[16:17]
	v_mul_f64 v[44:45], v[56:57], s[28:29]
	v_add_f64 v[54:55], v[54:55], v[60:61]
	v_fma_f64 v[60:61], v[36:37], s[34:35], v[38:39]
	v_add_f64 v[68:69], v[72:73], v[68:69]
	v_mul_f64 v[72:73], v[18:19], s[30:31]
	v_add_f64 v[22:23], v[46:47], v[22:23]
	v_fma_f64 v[46:47], v[74:75], s[30:31], -v[66:67]
	v_fma_f64 v[36:37], v[36:37], s[28:29], v[38:39]
	v_fma_f64 v[66:67], v[70:71], s[30:31], v[44:45]
	v_fma_f64 v[44:45], v[70:71], s[30:31], -v[44:45]
	v_add_f64 v[30:31], v[60:61], v[30:31]
	v_mul_f64 v[38:39], v[56:57], s[26:27]
	v_mul_f64 v[60:61], v[18:19], s[24:25]
	v_fma_f64 v[74:75], v[16:17], s[34:35], v[72:73]
	v_fma_f64 v[72:73], v[16:17], s[28:29], v[72:73]
	v_add_f64 v[12:13], v[46:47], v[12:13]
	v_add_f64 v[14:15], v[36:37], v[14:15]
	v_add_f64 v[20:21], v[44:45], v[20:21]
	v_mul_f64 v[44:45], v[56:57], s[16:17]
	v_fma_f64 v[36:37], v[70:71], s[24:25], v[38:39]
	v_fma_f64 v[46:47], v[16:17], s[20:21], v[60:61]
	v_add_f64 v[26:27], v[66:67], v[26:27]
	v_add_f64 v[24:25], v[72:73], v[24:25]
	v_mul_f64 v[66:67], v[18:19], s[10:11]
	v_fma_f64 v[38:39], v[70:71], s[24:25], -v[38:39]
	v_fma_f64 v[60:61], v[16:17], s[26:27], v[60:61]
	v_fma_f64 v[72:73], v[70:71], s[10:11], v[44:45]
	v_fma_f64 v[44:45], v[70:71], s[10:11], -v[44:45]
	v_add_f64 v[62:63], v[74:75], v[62:63]
	v_add_f64 v[28:29], v[36:37], v[28:29]
	;; [unrolled: 1-line block ×3, first 2 shown]
	v_mul_f64 v[36:37], v[56:57], s[36:37]
	v_mul_f64 v[46:47], v[18:19], s[38:39]
	v_fma_f64 v[74:75], v[16:17], s[22:23], v[66:67]
	v_fma_f64 v[66:67], v[16:17], s[16:17], v[66:67]
	v_add_f64 v[34:35], v[38:39], v[34:35]
	v_add_f64 v[38:39], v[60:61], v[40:41]
	v_add_f64 v[44:45], v[44:45], v[58:59]
	v_add_f64 v[58:59], v[6:7], -v[10:11]
	v_add_f64 v[60:61], v[6:7], v[10:11]
	v_mul_f64 v[6:7], v[56:57], s[18:19]
	v_mul_f64 v[10:11], v[18:19], s[8:9]
	v_fma_f64 v[76:77], v[70:71], s[38:39], v[36:37]
	v_fma_f64 v[78:79], v[16:17], s[40:41], v[46:47]
	v_add_f64 v[40:41], v[72:73], v[42:43]
	v_add_f64 v[42:43], v[74:75], v[50:51]
	;; [unrolled: 1-line block ×3, first 2 shown]
	v_fma_f64 v[18:19], v[70:71], s[38:39], -v[36:37]
	v_fma_f64 v[36:37], v[16:17], s[36:37], v[46:47]
	v_add_f64 v[46:47], v[4:5], v[8:9]
	v_add_f64 v[56:57], v[4:5], -v[8:9]
	v_mul_f64 v[8:9], v[58:59], s[36:37]
	v_fma_f64 v[4:5], v[70:71], s[8:9], v[6:7]
	v_fma_f64 v[66:67], v[16:17], s[2:3], v[10:11]
	v_mul_f64 v[64:65], v[60:61], s[38:39]
	v_fma_f64 v[6:7], v[70:71], s[8:9], -v[6:7]
	v_add_f64 v[68:69], v[36:37], v[68:69]
	v_fma_f64 v[10:11], v[16:17], s[18:19], v[10:11]
	v_add_f64 v[48:49], v[18:19], v[48:49]
	v_fma_f64 v[16:17], v[46:47], s[38:39], v[8:9]
	v_add_f64 v[36:37], v[4:5], v[22:23]
	v_add_f64 v[66:67], v[66:67], v[30:31]
	v_mul_f64 v[22:23], v[58:59], s[22:23]
	v_mul_f64 v[30:31], v[60:61], s[10:11]
	v_fma_f64 v[18:19], v[56:57], s[40:41], v[64:65]
	v_add_f64 v[70:71], v[6:7], v[12:13]
	v_add_f64 v[72:73], v[10:11], v[14:15]
	v_add_f64 v[4:5], v[16:17], v[26:27]
	v_fma_f64 v[8:9], v[46:47], s[38:39], -v[8:9]
	v_fma_f64 v[10:11], v[56:57], s[36:37], v[64:65]
	v_fma_f64 v[12:13], v[46:47], s[10:11], v[22:23]
	;; [unrolled: 1-line block ×3, first 2 shown]
	v_mul_f64 v[26:27], v[58:59], s[28:29]
	v_fma_f64 v[16:17], v[46:47], s[10:11], -v[22:23]
	v_mul_f64 v[22:23], v[60:61], s[30:31]
	v_add_f64 v[6:7], v[18:19], v[62:63]
	v_fma_f64 v[18:19], v[56:57], s[22:23], v[30:31]
	v_add_f64 v[8:9], v[8:9], v[20:21]
	v_add_f64 v[10:11], v[10:11], v[24:25]
	;; [unrolled: 1-line block ×4, first 2 shown]
	v_fma_f64 v[20:21], v[46:47], s[30:31], v[26:27]
	v_fma_f64 v[24:25], v[56:57], s[34:35], v[22:23]
	v_fma_f64 v[26:27], v[46:47], s[30:31], -v[26:27]
	v_fma_f64 v[28:29], v[56:57], s[28:29], v[22:23]
	v_mul_f64 v[30:31], v[58:59], s[18:19]
	v_mul_f64 v[32:33], v[60:61], s[8:9]
	v_add_f64 v[16:17], v[16:17], v[34:35]
	v_add_f64 v[18:19], v[18:19], v[38:39]
	v_mul_f64 v[34:35], v[58:59], s[20:21]
	v_mul_f64 v[38:39], v[60:61], s[24:25]
	v_add_f64 v[52:53], v[76:77], v[52:53]
	v_add_f64 v[54:55], v[78:79], v[54:55]
	;; [unrolled: 1-line block ×6, first 2 shown]
	v_fma_f64 v[28:29], v[46:47], s[8:9], v[30:31]
	v_fma_f64 v[40:41], v[56:57], s[2:3], v[32:33]
	;; [unrolled: 1-line block ×4, first 2 shown]
	v_fma_f64 v[42:43], v[46:47], s[8:9], -v[30:31]
	v_fma_f64 v[34:35], v[46:47], s[24:25], -v[34:35]
	v_fma_f64 v[46:47], v[56:57], s[20:21], v[38:39]
	v_fma_f64 v[56:57], v[56:57], s[18:19], v[32:33]
	v_add_f64 v[28:29], v[28:29], v[52:53]
	v_add_f64 v[30:31], v[40:41], v[54:55]
	;; [unrolled: 1-line block ×8, first 2 shown]
	ds_write_b128 v90, v[0:3]
	ds_write_b128 v90, v[4:7] offset:1456
	ds_write_b128 v90, v[12:15] offset:2912
	;; [unrolled: 1-line block ×10, first 2 shown]
	s_waitcnt lgkmcnt(0)
	s_barrier
	s_and_b64 exec, exec, s[0:1]
	s_cbranch_execz .LBB0_23
; %bb.22:
	v_lshlrev_b32_e32 v18, 4, v255
	global_load_dwordx4 v[0:3], v18, s[14:15]
	global_load_dwordx4 v[4:7], v18, s[14:15] offset:1232
	global_load_dwordx4 v[8:11], v18, s[14:15] offset:2464
	;; [unrolled: 1-line block ×3, first 2 shown]
	buffer_load_dword v16, off, s[52:55], 0 ; 4-byte Folded Reload
	buffer_load_dword v17, off, s[52:55], 0 offset:4 ; 4-byte Folded Reload
	v_add_co_u32_e32 v52, vcc, s14, v18
	s_movk_i32 s2, 0x1000
	s_movk_i32 s8, 0x3000
	v_mov_b32_e32 v81, s13
	s_waitcnt vmcnt(1)
	v_mov_b32_e32 v66, v16
	v_mov_b32_e32 v16, s15
	v_addc_co_u32_e32 v53, vcc, 0, v16, vcc
	v_add_co_u32_e32 v48, vcc, s2, v52
	v_addc_co_u32_e32 v49, vcc, 0, v53, vcc
	global_load_dwordx4 v[16:19], v[48:49], off offset:832
	ds_read_b128 v[20:23], v90
	ds_read_b128 v[24:27], v90 offset:1232
	ds_read_b128 v[28:31], v90 offset:2464
	ds_read_b128 v[32:35], v90 offset:3696
	global_load_dwordx4 v[36:39], v[48:49], off offset:2064
	ds_read_b128 v[40:43], v90 offset:4928
	ds_read_b128 v[44:47], v90 offset:6160
	global_load_dwordx4 v[48:51], v[48:49], off offset:3296
	v_mad_u64_u32 v[74:75], s[2:3], s4, v255, 0
	v_mad_u64_u32 v[72:73], s[0:1], s6, v66, 0
	s_mul_hi_u32 s6, s4, 0x4d0
	s_mul_i32 s2, s4, 0x4d0
	s_movk_i32 s4, 0x2000
	v_add_co_u32_e32 v64, vcc, s4, v52
	v_addc_co_u32_e32 v65, vcc, 0, v53, vcc
	v_add_co_u32_e32 v76, vcc, s8, v52
	v_addc_co_u32_e32 v77, vcc, 0, v53, vcc
	global_load_dwordx4 v[52:55], v[64:65], off offset:432
	global_load_dwordx4 v[56:59], v[64:65], off offset:1664
	;; [unrolled: 1-line block ×3, first 2 shown]
	s_mul_i32 s3, s5, 0x4d0
	v_mov_b32_e32 v64, v73
	v_mov_b32_e32 v65, v75
	s_add_i32 s3, s6, s3
	v_mad_u64_u32 v[78:79], s[6:7], s7, v66, v[64:65]
	v_mad_u64_u32 v[79:80], s[4:5], s5, v255, v[65:66]
	global_load_dwordx4 v[64:67], v[76:77], off offset:32
	global_load_dwordx4 v[68:71], v[76:77], off offset:1264
	v_mov_b32_e32 v73, v78
	v_lshlrev_b64 v[72:73], 4, v[72:73]
	v_mov_b32_e32 v75, v79
	v_lshlrev_b64 v[74:75], 4, v[74:75]
	v_add_co_u32_e32 v72, vcc, s12, v72
	v_addc_co_u32_e32 v73, vcc, v81, v73, vcc
	v_add_co_u32_e32 v72, vcc, v72, v74
	v_addc_co_u32_e32 v73, vcc, v73, v75, vcc
	s_waitcnt lgkmcnt(5)
	v_mul_f64 v[78:79], v[22:23], v[2:3]
	v_mul_f64 v[2:3], v[20:21], v[2:3]
	s_waitcnt lgkmcnt(4)
	v_mul_f64 v[80:81], v[26:27], v[6:7]
	v_mov_b32_e32 v82, s3
	v_add_co_u32_e32 v74, vcc, s2, v72
	v_mul_f64 v[6:7], v[24:25], v[6:7]
	v_addc_co_u32_e32 v75, vcc, v73, v82, vcc
	s_waitcnt lgkmcnt(3)
	v_mul_f64 v[82:83], v[30:31], v[10:11]
	v_mul_f64 v[10:11], v[28:29], v[10:11]
	s_waitcnt lgkmcnt(2)
	v_mul_f64 v[84:85], v[34:35], v[14:15]
	v_mul_f64 v[14:15], v[32:33], v[14:15]
	v_fma_f64 v[20:21], v[20:21], v[0:1], v[78:79]
	v_fma_f64 v[2:3], v[0:1], v[22:23], -v[2:3]
	v_fma_f64 v[22:23], v[24:25], v[4:5], v[80:81]
	v_fma_f64 v[6:7], v[4:5], v[26:27], -v[6:7]
	;; [unrolled: 2-line block ×3, first 2 shown]
	s_mov_b32 s0, 0x27a3ee9c
	s_mov_b32 s1, 0x3f505e1d
	v_fma_f64 v[26:27], v[32:33], v[12:13], v[84:85]
	v_fma_f64 v[14:15], v[12:13], v[34:35], -v[14:15]
	v_mul_f64 v[0:1], v[20:21], s[0:1]
	v_mul_f64 v[2:3], v[2:3], s[0:1]
	;; [unrolled: 1-line block ×6, first 2 shown]
	v_mov_b32_e32 v86, s3
	v_add_co_u32_e32 v20, vcc, s2, v74
	v_addc_co_u32_e32 v21, vcc, v75, v86, vcc
	v_mul_f64 v[12:13], v[26:27], s[0:1]
	global_store_dwordx4 v[72:73], v[0:3], off
	global_store_dwordx4 v[74:75], v[4:7], off
	;; [unrolled: 1-line block ×3, first 2 shown]
	v_mul_f64 v[14:15], v[14:15], s[0:1]
	s_waitcnt vmcnt(10) lgkmcnt(1)
	v_mul_f64 v[22:23], v[42:43], v[18:19]
	v_mul_f64 v[18:19], v[40:41], v[18:19]
	v_mov_b32_e32 v4, s3
	s_waitcnt vmcnt(9) lgkmcnt(0)
	v_mul_f64 v[8:9], v[46:47], v[38:39]
	v_mul_f64 v[10:11], v[44:45], v[38:39]
	v_fma_f64 v[0:1], v[40:41], v[16:17], v[22:23]
	v_fma_f64 v[2:3], v[16:17], v[42:43], -v[18:19]
	v_add_co_u32_e32 v16, vcc, s2, v20
	v_addc_co_u32_e32 v17, vcc, v21, v4, vcc
	ds_read_b128 v[4:7], v90 offset:7392
	global_store_dwordx4 v[16:17], v[12:15], off
	v_mul_f64 v[0:1], v[0:1], s[0:1]
	v_mul_f64 v[2:3], v[2:3], s[0:1]
	v_fma_f64 v[12:13], v[44:45], v[36:37], v[8:9]
	v_fma_f64 v[14:15], v[36:37], v[46:47], -v[10:11]
	ds_read_b128 v[8:11], v90 offset:8624
	s_waitcnt vmcnt(9) lgkmcnt(1)
	v_mul_f64 v[18:19], v[6:7], v[50:51]
	v_mul_f64 v[20:21], v[4:5], v[50:51]
	v_mov_b32_e32 v22, s3
	v_add_co_u32_e32 v16, vcc, s2, v16
	v_addc_co_u32_e32 v17, vcc, v17, v22, vcc
	global_store_dwordx4 v[16:17], v[0:3], off
	v_fma_f64 v[4:5], v[4:5], v[48:49], v[18:19]
	v_mul_f64 v[0:1], v[12:13], s[0:1]
	v_mul_f64 v[2:3], v[14:15], s[0:1]
	v_fma_f64 v[6:7], v[48:49], v[6:7], -v[20:21]
	s_waitcnt vmcnt(9) lgkmcnt(0)
	v_mul_f64 v[12:13], v[10:11], v[54:55]
	v_mul_f64 v[14:15], v[8:9], v[54:55]
	v_add_co_u32_e32 v16, vcc, s2, v16
	v_addc_co_u32_e32 v17, vcc, v17, v22, vcc
	global_store_dwordx4 v[16:17], v[0:3], off
	v_add_co_u32_e32 v16, vcc, s2, v16
	v_mul_f64 v[0:1], v[4:5], s[0:1]
	v_mul_f64 v[2:3], v[6:7], s[0:1]
	ds_read_b128 v[4:7], v90 offset:9856
	v_fma_f64 v[12:13], v[8:9], v[52:53], v[12:13]
	v_fma_f64 v[14:15], v[52:53], v[10:11], -v[14:15]
	ds_read_b128 v[8:11], v90 offset:11088
	v_addc_co_u32_e32 v17, vcc, v17, v22, vcc
	s_waitcnt vmcnt(9) lgkmcnt(1)
	v_mul_f64 v[18:19], v[6:7], v[58:59]
	v_mul_f64 v[20:21], v[4:5], v[58:59]
	global_store_dwordx4 v[16:17], v[0:3], off
	v_add_co_u32_e32 v16, vcc, s2, v16
	v_mul_f64 v[0:1], v[12:13], s[0:1]
	v_mul_f64 v[2:3], v[14:15], s[0:1]
	s_waitcnt vmcnt(9) lgkmcnt(0)
	v_mul_f64 v[12:13], v[10:11], v[62:63]
	v_fma_f64 v[4:5], v[4:5], v[56:57], v[18:19]
	v_fma_f64 v[6:7], v[56:57], v[6:7], -v[20:21]
	v_mul_f64 v[14:15], v[8:9], v[62:63]
	v_addc_co_u32_e32 v17, vcc, v17, v22, vcc
	v_mov_b32_e32 v18, s3
	global_store_dwordx4 v[16:17], v[0:3], off
	v_fma_f64 v[12:13], v[8:9], v[60:61], v[12:13]
	v_mul_f64 v[0:1], v[4:5], s[0:1]
	v_mul_f64 v[2:3], v[6:7], s[0:1]
	v_fma_f64 v[14:15], v[60:61], v[10:11], -v[14:15]
	ds_read_b128 v[4:7], v90 offset:12320
	ds_read_b128 v[8:11], v90 offset:13552
	v_add_co_u32_e32 v16, vcc, s2, v16
	v_addc_co_u32_e32 v17, vcc, v17, v18, vcc
	s_waitcnt vmcnt(9) lgkmcnt(1)
	v_mul_f64 v[18:19], v[6:7], v[66:67]
	v_mul_f64 v[20:21], v[4:5], v[66:67]
	s_waitcnt vmcnt(8) lgkmcnt(0)
	v_mul_f64 v[22:23], v[10:11], v[70:71]
	v_mul_f64 v[24:25], v[8:9], v[70:71]
	global_store_dwordx4 v[16:17], v[0:3], off
	v_fma_f64 v[4:5], v[4:5], v[64:65], v[18:19]
	v_mul_f64 v[0:1], v[12:13], s[0:1]
	v_mul_f64 v[2:3], v[14:15], s[0:1]
	v_fma_f64 v[6:7], v[64:65], v[6:7], -v[20:21]
	v_fma_f64 v[8:9], v[8:9], v[68:69], v[22:23]
	v_fma_f64 v[10:11], v[68:69], v[10:11], -v[24:25]
	v_mov_b32_e32 v13, s3
	v_add_co_u32_e32 v12, vcc, s2, v16
	v_addc_co_u32_e32 v13, vcc, v17, v13, vcc
	global_store_dwordx4 v[12:13], v[0:3], off
	v_mov_b32_e32 v14, s3
	v_mul_f64 v[0:1], v[4:5], s[0:1]
	v_mul_f64 v[2:3], v[6:7], s[0:1]
	;; [unrolled: 1-line block ×4, first 2 shown]
	v_add_co_u32_e32 v8, vcc, s2, v12
	v_addc_co_u32_e32 v9, vcc, v13, v14, vcc
	global_store_dwordx4 v[8:9], v[0:3], off
	s_nop 0
	v_mov_b32_e32 v0, s3
	v_add_co_u32_e32 v8, vcc, s2, v8
	v_addc_co_u32_e32 v9, vcc, v9, v0, vcc
	global_store_dwordx4 v[8:9], v[4:7], off
	global_load_dwordx4 v[0:3], v[76:77], off offset:2496
	ds_read_b128 v[4:7], v90 offset:14784
	s_waitcnt vmcnt(0) lgkmcnt(0)
	v_mul_f64 v[10:11], v[6:7], v[2:3]
	v_mul_f64 v[2:3], v[4:5], v[2:3]
	v_fma_f64 v[4:5], v[4:5], v[0:1], v[10:11]
	v_fma_f64 v[2:3], v[0:1], v[6:7], -v[2:3]
	v_mul_f64 v[0:1], v[4:5], s[0:1]
	v_mul_f64 v[2:3], v[2:3], s[0:1]
	v_mov_b32_e32 v5, s3
	v_add_co_u32_e32 v4, vcc, s2, v8
	v_addc_co_u32_e32 v5, vcc, v9, v5, vcc
	global_store_dwordx4 v[4:5], v[0:3], off
.LBB0_23:
	s_endpgm
	.section	.rodata,"a",@progbits
	.p2align	6, 0x0
	.amdhsa_kernel bluestein_single_fwd_len1001_dim1_dp_op_CI_CI
		.amdhsa_group_segment_fixed_size 32032
		.amdhsa_private_segment_fixed_size 416
		.amdhsa_kernarg_size 104
		.amdhsa_user_sgpr_count 6
		.amdhsa_user_sgpr_private_segment_buffer 1
		.amdhsa_user_sgpr_dispatch_ptr 0
		.amdhsa_user_sgpr_queue_ptr 0
		.amdhsa_user_sgpr_kernarg_segment_ptr 1
		.amdhsa_user_sgpr_dispatch_id 0
		.amdhsa_user_sgpr_flat_scratch_init 0
		.amdhsa_user_sgpr_private_segment_size 0
		.amdhsa_uses_dynamic_stack 0
		.amdhsa_system_sgpr_private_segment_wavefront_offset 1
		.amdhsa_system_sgpr_workgroup_id_x 1
		.amdhsa_system_sgpr_workgroup_id_y 0
		.amdhsa_system_sgpr_workgroup_id_z 0
		.amdhsa_system_sgpr_workgroup_info 0
		.amdhsa_system_vgpr_workitem_id 0
		.amdhsa_next_free_vgpr 256
		.amdhsa_next_free_sgpr 56
		.amdhsa_reserve_vcc 1
		.amdhsa_reserve_flat_scratch 0
		.amdhsa_float_round_mode_32 0
		.amdhsa_float_round_mode_16_64 0
		.amdhsa_float_denorm_mode_32 3
		.amdhsa_float_denorm_mode_16_64 3
		.amdhsa_dx10_clamp 1
		.amdhsa_ieee_mode 1
		.amdhsa_fp16_overflow 0
		.amdhsa_exception_fp_ieee_invalid_op 0
		.amdhsa_exception_fp_denorm_src 0
		.amdhsa_exception_fp_ieee_div_zero 0
		.amdhsa_exception_fp_ieee_overflow 0
		.amdhsa_exception_fp_ieee_underflow 0
		.amdhsa_exception_fp_ieee_inexact 0
		.amdhsa_exception_int_div_zero 0
	.end_amdhsa_kernel
	.text
.Lfunc_end0:
	.size	bluestein_single_fwd_len1001_dim1_dp_op_CI_CI, .Lfunc_end0-bluestein_single_fwd_len1001_dim1_dp_op_CI_CI
                                        ; -- End function
	.section	.AMDGPU.csdata,"",@progbits
; Kernel info:
; codeLenInByte = 25424
; NumSgprs: 60
; NumVgprs: 256
; ScratchSize: 416
; MemoryBound: 0
; FloatMode: 240
; IeeeMode: 1
; LDSByteSize: 32032 bytes/workgroup (compile time only)
; SGPRBlocks: 7
; VGPRBlocks: 63
; NumSGPRsForWavesPerEU: 60
; NumVGPRsForWavesPerEU: 256
; Occupancy: 1
; WaveLimiterHint : 1
; COMPUTE_PGM_RSRC2:SCRATCH_EN: 1
; COMPUTE_PGM_RSRC2:USER_SGPR: 6
; COMPUTE_PGM_RSRC2:TRAP_HANDLER: 0
; COMPUTE_PGM_RSRC2:TGID_X_EN: 1
; COMPUTE_PGM_RSRC2:TGID_Y_EN: 0
; COMPUTE_PGM_RSRC2:TGID_Z_EN: 0
; COMPUTE_PGM_RSRC2:TIDIG_COMP_CNT: 0
	.type	__hip_cuid_cb35d22ff5ffa5d4,@object ; @__hip_cuid_cb35d22ff5ffa5d4
	.section	.bss,"aw",@nobits
	.globl	__hip_cuid_cb35d22ff5ffa5d4
__hip_cuid_cb35d22ff5ffa5d4:
	.byte	0                               ; 0x0
	.size	__hip_cuid_cb35d22ff5ffa5d4, 1

	.ident	"AMD clang version 19.0.0git (https://github.com/RadeonOpenCompute/llvm-project roc-6.4.0 25133 c7fe45cf4b819c5991fe208aaa96edf142730f1d)"
	.section	".note.GNU-stack","",@progbits
	.addrsig
	.addrsig_sym __hip_cuid_cb35d22ff5ffa5d4
	.amdgpu_metadata
---
amdhsa.kernels:
  - .args:
      - .actual_access:  read_only
        .address_space:  global
        .offset:         0
        .size:           8
        .value_kind:     global_buffer
      - .actual_access:  read_only
        .address_space:  global
        .offset:         8
        .size:           8
        .value_kind:     global_buffer
      - .actual_access:  read_only
        .address_space:  global
        .offset:         16
        .size:           8
        .value_kind:     global_buffer
      - .actual_access:  read_only
        .address_space:  global
        .offset:         24
        .size:           8
        .value_kind:     global_buffer
      - .actual_access:  read_only
        .address_space:  global
        .offset:         32
        .size:           8
        .value_kind:     global_buffer
      - .offset:         40
        .size:           8
        .value_kind:     by_value
      - .address_space:  global
        .offset:         48
        .size:           8
        .value_kind:     global_buffer
      - .address_space:  global
        .offset:         56
        .size:           8
        .value_kind:     global_buffer
      - .address_space:  global
        .offset:         64
        .size:           8
        .value_kind:     global_buffer
      - .address_space:  global
        .offset:         72
        .size:           8
        .value_kind:     global_buffer
      - .offset:         80
        .size:           4
        .value_kind:     by_value
      - .address_space:  global
        .offset:         88
        .size:           8
        .value_kind:     global_buffer
      - .address_space:  global
        .offset:         96
        .size:           8
        .value_kind:     global_buffer
    .group_segment_fixed_size: 32032
    .kernarg_segment_align: 8
    .kernarg_segment_size: 104
    .language:       OpenCL C
    .language_version:
      - 2
      - 0
    .max_flat_workgroup_size: 182
    .name:           bluestein_single_fwd_len1001_dim1_dp_op_CI_CI
    .private_segment_fixed_size: 416
    .sgpr_count:     60
    .sgpr_spill_count: 0
    .symbol:         bluestein_single_fwd_len1001_dim1_dp_op_CI_CI.kd
    .uniform_work_group_size: 1
    .uses_dynamic_stack: false
    .vgpr_count:     256
    .vgpr_spill_count: 119
    .wavefront_size: 64
amdhsa.target:   amdgcn-amd-amdhsa--gfx906
amdhsa.version:
  - 1
  - 2
...

	.end_amdgpu_metadata
